;; amdgpu-corpus repo=ROCm/rocFFT kind=compiled arch=gfx1100 opt=O3
	.text
	.amdgcn_target "amdgcn-amd-amdhsa--gfx1100"
	.amdhsa_code_object_version 6
	.protected	fft_rtc_back_len1890_factors_2_3_3_3_7_5_wgs_126_tpt_126_halfLds_sp_ip_CI_unitstride_sbrr_R2C_dirReg ; -- Begin function fft_rtc_back_len1890_factors_2_3_3_3_7_5_wgs_126_tpt_126_halfLds_sp_ip_CI_unitstride_sbrr_R2C_dirReg
	.globl	fft_rtc_back_len1890_factors_2_3_3_3_7_5_wgs_126_tpt_126_halfLds_sp_ip_CI_unitstride_sbrr_R2C_dirReg
	.p2align	8
	.type	fft_rtc_back_len1890_factors_2_3_3_3_7_5_wgs_126_tpt_126_halfLds_sp_ip_CI_unitstride_sbrr_R2C_dirReg,@function
fft_rtc_back_len1890_factors_2_3_3_3_7_5_wgs_126_tpt_126_halfLds_sp_ip_CI_unitstride_sbrr_R2C_dirReg: ; @fft_rtc_back_len1890_factors_2_3_3_3_7_5_wgs_126_tpt_126_halfLds_sp_ip_CI_unitstride_sbrr_R2C_dirReg
; %bb.0:
	s_clause 0x2
	s_load_b128 s[4:7], s[0:1], 0x0
	s_load_b64 s[8:9], s[0:1], 0x50
	s_load_b64 s[10:11], s[0:1], 0x18
	v_mul_u32_u24_e32 v1, 0x209, v0
	v_mov_b32_e32 v3, 0
	v_mov_b32_e32 v4, 0
	s_delay_alu instid0(VALU_DEP_3) | instskip(SKIP_1) | instid1(VALU_DEP_1)
	v_lshrrev_b32_e32 v2, 16, v1
	v_mov_b32_e32 v1, 0
	v_dual_mov_b32 v6, v1 :: v_dual_add_nc_u32 v5, s15, v2
	s_waitcnt lgkmcnt(0)
	v_cmp_lt_u64_e64 s2, s[6:7], 2
	s_delay_alu instid0(VALU_DEP_1)
	s_and_b32 vcc_lo, exec_lo, s2
	s_cbranch_vccnz .LBB0_8
; %bb.1:
	s_load_b64 s[2:3], s[0:1], 0x10
	v_mov_b32_e32 v3, 0
	s_add_u32 s12, s10, 8
	v_mov_b32_e32 v4, 0
	s_addc_u32 s13, s11, 0
	s_mov_b64 s[16:17], 1
	s_waitcnt lgkmcnt(0)
	s_add_u32 s14, s2, 8
	s_addc_u32 s15, s3, 0
.LBB0_2:                                ; =>This Inner Loop Header: Depth=1
	s_load_b64 s[18:19], s[14:15], 0x0
                                        ; implicit-def: $vgpr7_vgpr8
	s_mov_b32 s2, exec_lo
	s_waitcnt lgkmcnt(0)
	v_or_b32_e32 v2, s19, v6
	s_delay_alu instid0(VALU_DEP_1)
	v_cmpx_ne_u64_e32 0, v[1:2]
	s_xor_b32 s3, exec_lo, s2
	s_cbranch_execz .LBB0_4
; %bb.3:                                ;   in Loop: Header=BB0_2 Depth=1
	v_cvt_f32_u32_e32 v2, s18
	v_cvt_f32_u32_e32 v7, s19
	s_sub_u32 s2, 0, s18
	s_subb_u32 s20, 0, s19
	s_delay_alu instid0(VALU_DEP_1) | instskip(NEXT) | instid1(VALU_DEP_1)
	v_fmac_f32_e32 v2, 0x4f800000, v7
	v_rcp_f32_e32 v2, v2
	s_waitcnt_depctr 0xfff
	v_mul_f32_e32 v2, 0x5f7ffffc, v2
	s_delay_alu instid0(VALU_DEP_1) | instskip(NEXT) | instid1(VALU_DEP_1)
	v_mul_f32_e32 v7, 0x2f800000, v2
	v_trunc_f32_e32 v7, v7
	s_delay_alu instid0(VALU_DEP_1) | instskip(SKIP_1) | instid1(VALU_DEP_2)
	v_fmac_f32_e32 v2, 0xcf800000, v7
	v_cvt_u32_f32_e32 v7, v7
	v_cvt_u32_f32_e32 v2, v2
	s_delay_alu instid0(VALU_DEP_2) | instskip(NEXT) | instid1(VALU_DEP_2)
	v_mul_lo_u32 v8, s2, v7
	v_mul_hi_u32 v9, s2, v2
	v_mul_lo_u32 v10, s20, v2
	s_delay_alu instid0(VALU_DEP_2) | instskip(SKIP_1) | instid1(VALU_DEP_2)
	v_add_nc_u32_e32 v8, v9, v8
	v_mul_lo_u32 v9, s2, v2
	v_add_nc_u32_e32 v8, v8, v10
	s_delay_alu instid0(VALU_DEP_2) | instskip(NEXT) | instid1(VALU_DEP_2)
	v_mul_hi_u32 v10, v2, v9
	v_mul_lo_u32 v11, v2, v8
	v_mul_hi_u32 v12, v2, v8
	v_mul_hi_u32 v13, v7, v9
	v_mul_lo_u32 v9, v7, v9
	v_mul_hi_u32 v14, v7, v8
	v_mul_lo_u32 v8, v7, v8
	v_add_co_u32 v10, vcc_lo, v10, v11
	v_add_co_ci_u32_e32 v11, vcc_lo, 0, v12, vcc_lo
	s_delay_alu instid0(VALU_DEP_2) | instskip(NEXT) | instid1(VALU_DEP_2)
	v_add_co_u32 v9, vcc_lo, v10, v9
	v_add_co_ci_u32_e32 v9, vcc_lo, v11, v13, vcc_lo
	v_add_co_ci_u32_e32 v10, vcc_lo, 0, v14, vcc_lo
	s_delay_alu instid0(VALU_DEP_2) | instskip(NEXT) | instid1(VALU_DEP_2)
	v_add_co_u32 v8, vcc_lo, v9, v8
	v_add_co_ci_u32_e32 v9, vcc_lo, 0, v10, vcc_lo
	s_delay_alu instid0(VALU_DEP_2) | instskip(NEXT) | instid1(VALU_DEP_2)
	v_add_co_u32 v2, vcc_lo, v2, v8
	v_add_co_ci_u32_e32 v7, vcc_lo, v7, v9, vcc_lo
	s_delay_alu instid0(VALU_DEP_2) | instskip(SKIP_1) | instid1(VALU_DEP_3)
	v_mul_hi_u32 v8, s2, v2
	v_mul_lo_u32 v10, s20, v2
	v_mul_lo_u32 v9, s2, v7
	s_delay_alu instid0(VALU_DEP_1) | instskip(SKIP_1) | instid1(VALU_DEP_2)
	v_add_nc_u32_e32 v8, v8, v9
	v_mul_lo_u32 v9, s2, v2
	v_add_nc_u32_e32 v8, v8, v10
	s_delay_alu instid0(VALU_DEP_2) | instskip(NEXT) | instid1(VALU_DEP_2)
	v_mul_hi_u32 v10, v2, v9
	v_mul_lo_u32 v11, v2, v8
	v_mul_hi_u32 v12, v2, v8
	v_mul_hi_u32 v13, v7, v9
	v_mul_lo_u32 v9, v7, v9
	v_mul_hi_u32 v14, v7, v8
	v_mul_lo_u32 v8, v7, v8
	v_add_co_u32 v10, vcc_lo, v10, v11
	v_add_co_ci_u32_e32 v11, vcc_lo, 0, v12, vcc_lo
	s_delay_alu instid0(VALU_DEP_2) | instskip(NEXT) | instid1(VALU_DEP_2)
	v_add_co_u32 v9, vcc_lo, v10, v9
	v_add_co_ci_u32_e32 v9, vcc_lo, v11, v13, vcc_lo
	v_add_co_ci_u32_e32 v10, vcc_lo, 0, v14, vcc_lo
	s_delay_alu instid0(VALU_DEP_2) | instskip(NEXT) | instid1(VALU_DEP_2)
	v_add_co_u32 v8, vcc_lo, v9, v8
	v_add_co_ci_u32_e32 v9, vcc_lo, 0, v10, vcc_lo
	s_delay_alu instid0(VALU_DEP_2) | instskip(NEXT) | instid1(VALU_DEP_2)
	v_add_co_u32 v2, vcc_lo, v2, v8
	v_add_co_ci_u32_e32 v13, vcc_lo, v7, v9, vcc_lo
	s_delay_alu instid0(VALU_DEP_2) | instskip(SKIP_1) | instid1(VALU_DEP_3)
	v_mul_hi_u32 v14, v5, v2
	v_mad_u64_u32 v[9:10], null, v6, v2, 0
	v_mad_u64_u32 v[7:8], null, v5, v13, 0
	;; [unrolled: 1-line block ×3, first 2 shown]
	s_delay_alu instid0(VALU_DEP_2) | instskip(NEXT) | instid1(VALU_DEP_3)
	v_add_co_u32 v2, vcc_lo, v14, v7
	v_add_co_ci_u32_e32 v7, vcc_lo, 0, v8, vcc_lo
	s_delay_alu instid0(VALU_DEP_2) | instskip(NEXT) | instid1(VALU_DEP_2)
	v_add_co_u32 v2, vcc_lo, v2, v9
	v_add_co_ci_u32_e32 v2, vcc_lo, v7, v10, vcc_lo
	v_add_co_ci_u32_e32 v7, vcc_lo, 0, v12, vcc_lo
	s_delay_alu instid0(VALU_DEP_2) | instskip(NEXT) | instid1(VALU_DEP_2)
	v_add_co_u32 v2, vcc_lo, v2, v11
	v_add_co_ci_u32_e32 v9, vcc_lo, 0, v7, vcc_lo
	s_delay_alu instid0(VALU_DEP_2) | instskip(SKIP_1) | instid1(VALU_DEP_3)
	v_mul_lo_u32 v10, s19, v2
	v_mad_u64_u32 v[7:8], null, s18, v2, 0
	v_mul_lo_u32 v11, s18, v9
	s_delay_alu instid0(VALU_DEP_2) | instskip(NEXT) | instid1(VALU_DEP_2)
	v_sub_co_u32 v7, vcc_lo, v5, v7
	v_add3_u32 v8, v8, v11, v10
	s_delay_alu instid0(VALU_DEP_1) | instskip(NEXT) | instid1(VALU_DEP_1)
	v_sub_nc_u32_e32 v10, v6, v8
	v_subrev_co_ci_u32_e64 v10, s2, s19, v10, vcc_lo
	v_add_co_u32 v11, s2, v2, 2
	s_delay_alu instid0(VALU_DEP_1) | instskip(SKIP_3) | instid1(VALU_DEP_3)
	v_add_co_ci_u32_e64 v12, s2, 0, v9, s2
	v_sub_co_u32 v13, s2, v7, s18
	v_sub_co_ci_u32_e32 v8, vcc_lo, v6, v8, vcc_lo
	v_subrev_co_ci_u32_e64 v10, s2, 0, v10, s2
	v_cmp_le_u32_e32 vcc_lo, s18, v13
	s_delay_alu instid0(VALU_DEP_3) | instskip(SKIP_1) | instid1(VALU_DEP_4)
	v_cmp_eq_u32_e64 s2, s19, v8
	v_cndmask_b32_e64 v13, 0, -1, vcc_lo
	v_cmp_le_u32_e32 vcc_lo, s19, v10
	v_cndmask_b32_e64 v14, 0, -1, vcc_lo
	v_cmp_le_u32_e32 vcc_lo, s18, v7
	;; [unrolled: 2-line block ×3, first 2 shown]
	v_cndmask_b32_e64 v15, 0, -1, vcc_lo
	v_cmp_eq_u32_e32 vcc_lo, s19, v10
	s_delay_alu instid0(VALU_DEP_2) | instskip(SKIP_3) | instid1(VALU_DEP_3)
	v_cndmask_b32_e64 v7, v15, v7, s2
	v_cndmask_b32_e32 v10, v14, v13, vcc_lo
	v_add_co_u32 v13, vcc_lo, v2, 1
	v_add_co_ci_u32_e32 v14, vcc_lo, 0, v9, vcc_lo
	v_cmp_ne_u32_e32 vcc_lo, 0, v10
	s_delay_alu instid0(VALU_DEP_2) | instskip(NEXT) | instid1(VALU_DEP_4)
	v_cndmask_b32_e32 v8, v14, v12, vcc_lo
	v_cndmask_b32_e32 v10, v13, v11, vcc_lo
	v_cmp_ne_u32_e32 vcc_lo, 0, v7
	s_delay_alu instid0(VALU_DEP_2)
	v_dual_cndmask_b32 v7, v2, v10 :: v_dual_cndmask_b32 v8, v9, v8
.LBB0_4:                                ;   in Loop: Header=BB0_2 Depth=1
	s_and_not1_saveexec_b32 s2, s3
	s_cbranch_execz .LBB0_6
; %bb.5:                                ;   in Loop: Header=BB0_2 Depth=1
	v_cvt_f32_u32_e32 v2, s18
	s_sub_i32 s3, 0, s18
	s_delay_alu instid0(VALU_DEP_1) | instskip(SKIP_2) | instid1(VALU_DEP_1)
	v_rcp_iflag_f32_e32 v2, v2
	s_waitcnt_depctr 0xfff
	v_mul_f32_e32 v2, 0x4f7ffffe, v2
	v_cvt_u32_f32_e32 v2, v2
	s_delay_alu instid0(VALU_DEP_1) | instskip(NEXT) | instid1(VALU_DEP_1)
	v_mul_lo_u32 v7, s3, v2
	v_mul_hi_u32 v7, v2, v7
	s_delay_alu instid0(VALU_DEP_1) | instskip(NEXT) | instid1(VALU_DEP_1)
	v_add_nc_u32_e32 v2, v2, v7
	v_mul_hi_u32 v2, v5, v2
	s_delay_alu instid0(VALU_DEP_1) | instskip(SKIP_1) | instid1(VALU_DEP_2)
	v_mul_lo_u32 v7, v2, s18
	v_add_nc_u32_e32 v8, 1, v2
	v_sub_nc_u32_e32 v7, v5, v7
	s_delay_alu instid0(VALU_DEP_1) | instskip(SKIP_1) | instid1(VALU_DEP_2)
	v_subrev_nc_u32_e32 v9, s18, v7
	v_cmp_le_u32_e32 vcc_lo, s18, v7
	v_dual_cndmask_b32 v7, v7, v9 :: v_dual_cndmask_b32 v2, v2, v8
	s_delay_alu instid0(VALU_DEP_1) | instskip(NEXT) | instid1(VALU_DEP_2)
	v_cmp_le_u32_e32 vcc_lo, s18, v7
	v_add_nc_u32_e32 v8, 1, v2
	s_delay_alu instid0(VALU_DEP_1)
	v_dual_cndmask_b32 v7, v2, v8 :: v_dual_mov_b32 v8, v1
.LBB0_6:                                ;   in Loop: Header=BB0_2 Depth=1
	s_or_b32 exec_lo, exec_lo, s2
	s_load_b64 s[2:3], s[12:13], 0x0
	s_delay_alu instid0(VALU_DEP_1) | instskip(NEXT) | instid1(VALU_DEP_2)
	v_mul_lo_u32 v2, v8, s18
	v_mul_lo_u32 v11, v7, s19
	v_mad_u64_u32 v[9:10], null, v7, s18, 0
	s_add_u32 s16, s16, 1
	s_addc_u32 s17, s17, 0
	s_add_u32 s12, s12, 8
	s_addc_u32 s13, s13, 0
	;; [unrolled: 2-line block ×3, first 2 shown]
	s_delay_alu instid0(VALU_DEP_1) | instskip(SKIP_1) | instid1(VALU_DEP_2)
	v_add3_u32 v2, v10, v11, v2
	v_sub_co_u32 v9, vcc_lo, v5, v9
	v_sub_co_ci_u32_e32 v2, vcc_lo, v6, v2, vcc_lo
	s_waitcnt lgkmcnt(0)
	s_delay_alu instid0(VALU_DEP_2) | instskip(NEXT) | instid1(VALU_DEP_2)
	v_mul_lo_u32 v10, s3, v9
	v_mul_lo_u32 v2, s2, v2
	v_mad_u64_u32 v[5:6], null, s2, v9, v[3:4]
	v_cmp_ge_u64_e64 s2, s[16:17], s[6:7]
	s_delay_alu instid0(VALU_DEP_1) | instskip(NEXT) | instid1(VALU_DEP_2)
	s_and_b32 vcc_lo, exec_lo, s2
	v_add3_u32 v4, v10, v6, v2
	s_delay_alu instid0(VALU_DEP_3)
	v_mov_b32_e32 v3, v5
	s_cbranch_vccnz .LBB0_9
; %bb.7:                                ;   in Loop: Header=BB0_2 Depth=1
	v_dual_mov_b32 v5, v7 :: v_dual_mov_b32 v6, v8
	s_branch .LBB0_2
.LBB0_8:
	v_dual_mov_b32 v8, v6 :: v_dual_mov_b32 v7, v5
.LBB0_9:
	s_lshl_b64 s[2:3], s[6:7], 3
	v_mul_hi_u32 v1, 0x2082083, v0
	s_add_u32 s2, s10, s2
	s_addc_u32 s3, s11, s3
	s_load_b64 s[0:1], s[0:1], 0x20
	s_load_b64 s[2:3], s[2:3], 0x0
	s_delay_alu instid0(VALU_DEP_1) | instskip(NEXT) | instid1(VALU_DEP_1)
	v_mul_u32_u24_e32 v1, 0x7e, v1
	v_sub_nc_u32_e32 v24, v0, v1
	s_delay_alu instid0(VALU_DEP_1)
	v_add_nc_u32_e32 v28, 0x7e, v24
	v_add_nc_u32_e32 v34, 0xfc, v24
	;; [unrolled: 1-line block ×5, first 2 shown]
	s_waitcnt lgkmcnt(0)
	v_cmp_gt_u64_e32 vcc_lo, s[0:1], v[7:8]
	v_mul_lo_u32 v2, s2, v8
	v_mul_lo_u32 v5, s3, v7
	v_mad_u64_u32 v[0:1], null, s2, v7, v[3:4]
	v_cmp_le_u64_e64 s0, s[0:1], v[7:8]
	v_add_nc_u32_e32 v30, 0x2f4, v24
	s_delay_alu instid0(VALU_DEP_3) | instskip(NEXT) | instid1(VALU_DEP_3)
	v_add3_u32 v1, v5, v1, v2
	s_and_saveexec_b32 s1, s0
	s_delay_alu instid0(SALU_CYCLE_1)
	s_xor_b32 s0, exec_lo, s1
; %bb.10:
	v_add_nc_u32_e32 v28, 0x7e, v24
	v_add_nc_u32_e32 v34, 0xfc, v24
	;; [unrolled: 1-line block ×6, first 2 shown]
; %bb.11:
	s_or_saveexec_b32 s1, s0
	v_lshlrev_b64 v[26:27], 3, v[0:1]
	s_xor_b32 exec_lo, exec_lo, s1
	s_cbranch_execz .LBB0_13
; %bb.12:
	v_mov_b32_e32 v25, 0
	s_delay_alu instid0(VALU_DEP_2) | instskip(NEXT) | instid1(VALU_DEP_1)
	v_add_co_u32 v2, s0, s8, v26
	v_add_co_ci_u32_e64 v3, s0, s9, v27, s0
	s_delay_alu instid0(VALU_DEP_3) | instskip(SKIP_1) | instid1(VALU_DEP_1)
	v_lshlrev_b64 v[0:1], 3, v[24:25]
	v_lshl_add_u32 v25, v24, 3, 0
	v_add_nc_u32_e32 v29, 0x400, v25
	s_delay_alu instid0(VALU_DEP_3) | instskip(NEXT) | instid1(VALU_DEP_1)
	v_add_co_u32 v0, s0, v2, v0
	v_add_co_ci_u32_e64 v1, s0, v3, v1, s0
	v_add_nc_u32_e32 v41, 0xc00, v25
	s_delay_alu instid0(VALU_DEP_3) | instskip(NEXT) | instid1(VALU_DEP_1)
	v_add_co_u32 v2, s0, 0x1000, v0
	v_add_co_ci_u32_e64 v3, s0, 0, v1, s0
	v_add_co_u32 v20, s0, 0x2000, v0
	s_delay_alu instid0(VALU_DEP_1)
	v_add_co_ci_u32_e64 v21, s0, 0, v1, s0
	s_clause 0x7
	global_load_b64 v[4:5], v[0:1], off
	global_load_b64 v[6:7], v[0:1], off offset:1008
	global_load_b64 v[8:9], v[0:1], off offset:2016
	global_load_b64 v[10:11], v[0:1], off offset:3024
	global_load_b64 v[12:13], v[0:1], off offset:4032
	global_load_b64 v[14:15], v[2:3], off offset:944
	global_load_b64 v[16:17], v[2:3], off offset:1952
	global_load_b64 v[18:19], v[2:3], off offset:2960
	v_add_co_u32 v0, s0, 0x3000, v0
	s_delay_alu instid0(VALU_DEP_1)
	v_add_co_ci_u32_e64 v1, s0, 0, v1, s0
	s_clause 0x6
	global_load_b64 v[2:3], v[2:3], off offset:3968
	global_load_b64 v[22:23], v[20:21], off offset:880
	;; [unrolled: 1-line block ×7, first 2 shown]
	v_add_nc_u32_e32 v42, 0x1400, v25
	v_add_nc_u32_e32 v43, 0x1c00, v25
	;; [unrolled: 1-line block ×4, first 2 shown]
	s_waitcnt vmcnt(13)
	ds_store_2addr_b64 v25, v[4:5], v[6:7] offset1:126
	s_waitcnt vmcnt(11)
	ds_store_2addr_b64 v29, v[8:9], v[10:11] offset0:124 offset1:250
	s_waitcnt vmcnt(9)
	ds_store_2addr_b64 v41, v[12:13], v[14:15] offset0:120 offset1:246
	;; [unrolled: 2-line block ×6, first 2 shown]
	s_waitcnt vmcnt(0)
	ds_store_b64 v25, v[0:1] offset:14112
.LBB0_13:
	s_or_b32 exec_lo, exec_lo, s1
	v_lshlrev_b32_e32 v25, 3, v24
	s_waitcnt lgkmcnt(0)
	s_barrier
	buffer_gl0_inv
	v_lshl_add_u32 v57, v28, 4, 0
	v_add_nc_u32_e32 v53, 0, v25
	v_lshl_add_u32 v58, v33, 4, 0
	v_lshl_add_u32 v55, v32, 4, 0
	;; [unrolled: 1-line block ×3, first 2 shown]
	v_cmp_gt_u32_e64 s0, 63, v24
	ds_load_2addr_b64 v[5:8], v53 offset1:126
	v_add_nc_u32_e32 v18, 0x1c00, v53
	ds_load_2addr_b64 v[9:12], v18 offset0:49 offset1:175
	s_waitcnt lgkmcnt(0)
	v_dual_sub_f32 v11, v7, v11 :: v_dual_sub_f32 v12, v8, v12
	v_add_nc_u32_e32 v0, 0x400, v53
	v_add_nc_u32_e32 v19, 0x2400, v53
	;; [unrolled: 1-line block ×4, first 2 shown]
	ds_load_2addr_b64 v[13:16], v0 offset0:124 offset1:250
	ds_load_2addr_b64 v[35:38], v19 offset0:45 offset1:171
	;; [unrolled: 1-line block ×4, first 2 shown]
	v_add_nc_u32_e32 v4, 0x1400, v53
	v_add_nc_u32_e32 v17, 0x3400, v53
	v_dual_sub_f32 v9, v5, v9 :: v_dual_sub_f32 v10, v6, v10
	v_fma_f32 v7, v7, 2.0, -v11
	v_fma_f32 v8, v8, 2.0, -v12
	s_delay_alu instid0(VALU_DEP_3)
	v_fma_f32 v6, v6, 2.0, -v10
	s_waitcnt lgkmcnt(2)
	v_dual_sub_f32 v21, v13, v35 :: v_dual_sub_f32 v22, v14, v36
	s_waitcnt lgkmcnt(0)
	v_sub_f32_e32 v46, v42, v46
	v_sub_f32_e32 v44, v40, v44
	ds_load_2addr_b64 v[0:3], v4 offset0:116 offset1:242
	ds_load_2addr_b64 v[47:50], v17 offset0:37 offset1:163
	v_dual_sub_f32 v37, v15, v37 :: v_dual_sub_f32 v38, v16, v38
	v_sub_f32_e32 v43, v39, v43
	v_sub_f32_e32 v45, v41, v45
	v_fma_f32 v5, v5, 2.0, -v9
	v_add_nc_u32_e32 v17, v53, v25
	v_fma_f32 v13, v13, 2.0, -v21
	v_fma_f32 v14, v14, 2.0, -v22
	;; [unrolled: 1-line block ×4, first 2 shown]
	v_lshl_add_u32 v39, v34, 4, 0
	v_fma_f32 v52, v40, 2.0, -v44
	s_waitcnt lgkmcnt(0)
	s_barrier
	buffer_gl0_inv
	ds_store_2addr_b64 v17, v[5:6], v[9:10] offset1:1
	ds_store_2addr_b64 v57, v[7:8], v[11:12] offset1:1
	;; [unrolled: 1-line block ×3, first 2 shown]
	v_lshl_add_u32 v5, v30, 4, 0
	v_dual_sub_f32 v36, v3, v50 :: v_dual_sub_f32 v47, v0, v47
	v_sub_f32_e32 v48, v1, v48
	v_fma_f32 v15, v15, 2.0, -v37
	v_sub_f32_e32 v35, v2, v49
	v_fma_f32 v40, v41, 2.0, -v45
	v_fma_f32 v41, v42, 2.0, -v46
	;; [unrolled: 1-line block ×4, first 2 shown]
	ds_store_2addr_b64 v58, v[15:16], v[37:38] offset1:1
	ds_store_2addr_b64 v55, v[51:52], v[43:44] offset1:1
	;; [unrolled: 1-line block ×4, first 2 shown]
	s_and_saveexec_b32 s1, s0
	s_cbranch_execz .LBB0_15
; %bb.14:
	v_fma_f32 v1, v3, 2.0, -v36
	v_fma_f32 v0, v2, 2.0, -v35
	v_add3_u32 v2, v53, v25, 0x3720
	ds_store_2addr_b64 v2, v[0:1], v[35:36] offset1:1
.LBB0_15:
	s_or_b32 exec_lo, exec_lo, s1
	s_waitcnt lgkmcnt(0)
	s_barrier
	buffer_gl0_inv
	ds_load_2addr_b64 v[12:15], v19 offset0:108 offset1:234
	v_and_b32_e32 v44, 1, v24
	ds_load_2addr_b64 v[8:11], v4 offset0:116 offset1:242
	ds_load_2addr_b64 v[4:7], v18 offset0:112 offset1:238
	v_lshrrev_b32_e32 v46, 1, v28
	ds_load_2addr_b32 v[16:17], v20 offset0:208 offset1:209
	v_lshlrev_b32_e32 v0, 4, v44
	v_lshrrev_b32_e32 v45, 1, v24
	v_lshrrev_b32_e32 v51, 1, v34
	;; [unrolled: 1-line block ×4, first 2 shown]
	global_load_b128 v[0:3], v0, s[4:5]
	v_add_nc_u32_e32 v41, 0x3000, v53
	v_and_b32_e32 v38, 0xffff, v34
	v_lshlrev_b32_e32 v29, 3, v31
	v_and_b32_e32 v63, 0xff, v24
	v_lshlrev_b32_e32 v59, 3, v28
	v_lshlrev_b32_e32 v40, 3, v34
	v_mul_lo_u32 v46, v46, 6
	v_lshlrev_b32_e32 v60, 3, v33
	v_lshlrev_b32_e32 v56, 3, v32
	v_sub_nc_u32_e32 v37, v54, v29
	v_mul_u32_u24_e32 v45, 6, v45
	v_sub_nc_u32_e32 v21, v39, v40
	v_mul_lo_u32 v75, v51, 6
	v_mul_lo_u32 v76, v52, 6
	;; [unrolled: 1-line block ×3, first 2 shown]
	v_and_b32_e32 v43, 0xffff, v33
	v_and_b32_e32 v74, 0xffff, v32
	v_cmp_gt_u32_e64 s1, 18, v24
	s_waitcnt vmcnt(0) lgkmcnt(3)
	v_mul_f32_e32 v94, v3, v15
	ds_load_2addr_b64 v[47:50], v41 offset0:102 offset1:228
	v_and_b32_e32 v62, 0xff, v28
	s_waitcnt lgkmcnt(3)
	v_mul_f32_e32 v93, v1, v8
	v_mul_u32_u24_e32 v79, 0xaaab, v38
	v_mul_f32_e32 v92, v1, v9
	v_mul_lo_u16 v77, 0xab, v63
	v_mul_f32_e32 v90, v3, v13
	v_sub_nc_u32_e32 v42, v57, v59
	v_lshrrev_b32_e32 v79, 18, v79
	v_mul_f32_e32 v91, v3, v12
	v_sub_nc_u32_e32 v22, v58, v60
	s_waitcnt lgkmcnt(2)
	v_mul_f32_e32 v101, v4, v1
	v_sub_nc_u32_e32 v23, v55, v56
	ds_load_b64 v[51:52], v53
	ds_load_b64 v[64:65], v37
	;; [unrolled: 1-line block ×6, first 2 shown]
	v_lshrrev_b16 v77, 10, v77
	v_mul_lo_u16 v83, v79, 6
	v_mul_f32_e32 v95, v3, v14
	v_or_b32_e32 v45, v45, v44
	v_or_b32_e32 v46, v46, v44
	;; [unrolled: 1-line block ×3, first 2 shown]
	s_waitcnt lgkmcnt(6)
	v_mul_f32_e32 v103, v47, v3
	v_mul_lo_u16 v78, 0xab, v62
	v_or_b32_e32 v76, v76, v44
	v_or_b32_e32 v61, v61, v44
	v_mul_lo_u16 v44, v77, 6
	v_lshl_add_u32 v82, v45, 3, 0
	v_lshrrev_b16 v78, 10, v78
	v_lshl_add_u32 v86, v46, 3, 0
	v_sub_nc_u16 v46, v34, v83
	v_mul_f32_e32 v96, v1, v11
	v_mul_u32_u24_e32 v80, 0xaaab, v43
	v_mul_lo_u16 v45, v78, 6
	v_sub_nc_u16 v44, v24, v44
	v_dual_mul_f32 v99, v3, v16 :: v_dual_and_b32 v46, 0xffff, v46
	s_delay_alu instid0(VALU_DEP_4) | instskip(NEXT) | instid1(VALU_DEP_4)
	v_lshrrev_b32_e32 v80, 18, v80
	v_sub_nc_u16 v45, v28, v45
	s_delay_alu instid0(VALU_DEP_4) | instskip(SKIP_1) | instid1(VALU_DEP_4)
	v_dual_mul_f32 v97, v1, v10 :: v_dual_and_b32 v44, 0xff, v44
	v_mul_f32_e32 v105, v50, v3
	v_mul_lo_u16 v84, v80, 6
	s_delay_alu instid0(VALU_DEP_4)
	v_dual_mul_f32 v98, v17, v3 :: v_dual_and_b32 v45, 0xff, v45
	s_waitcnt lgkmcnt(4)
	v_mul_f32_e32 v88, v1, v65
	v_mul_f32_e32 v89, v1, v64
	v_fmac_f32_e32 v92, v0, v8
	v_fma_f32 v8, v0, v9, -v93
	v_fma_f32 v9, v0, v11, -v97
	;; [unrolled: 1-line block ×3, first 2 shown]
	v_sub_nc_u16 v83, v33, v84
	v_lshlrev_b32_e32 v84, 4, v44
	v_dual_mul_f32 v102, v48, v3 :: v_dual_lshlrev_b32 v87, 4, v45
	v_dual_mul_f32 v104, v7, v1 :: v_dual_fmac_f32 v105, v49, v2
	v_dual_mul_f32 v3, v49, v3 :: v_dual_fmac_f32 v94, v2, v14
	v_fmac_f32_e32 v96, v0, v10
	v_fmac_f32_e32 v88, v0, v64
	v_fma_f32 v10, v0, v65, -v89
	v_sub_f32_e32 v64, v9, v11
	s_waitcnt lgkmcnt(2)
	v_dual_add_f32 v65, v69, v9 :: v_dual_fmac_f32 v90, v2, v12
	v_fma_f32 v12, v2, v13, -v91
	v_fma_f32 v13, v2, v15, -v95
	v_add_f32_e32 v9, v9, v11
	v_mul_f32_e32 v100, v5, v1
	v_mul_f32_e32 v1, v6, v1
	v_fmac_f32_e32 v104, v6, v0
	v_fma_f32 v15, v50, v2, -v3
	v_add_f32_e32 v3, v66, v92
	v_fmac_f32_e32 v100, v4, v0
	v_fma_f32 v4, v5, v0, -v101
	v_dual_fmac_f32 v102, v47, v2 :: v_dual_add_f32 v49, v68, v96
	v_fma_f32 v0, v7, v0, -v1
	v_sub_f32_e32 v47, v8, v13
	v_dual_add_f32 v7, v92, v94 :: v_dual_fmac_f32 v98, v2, v16
	v_add_f32_e32 v5, v88, v90
	v_fma_f32 v14, v48, v2, -v103
	v_add_f32_e32 v1, v51, v88
	v_add_f32_e32 v6, v10, v12
	v_dual_sub_f32 v16, v10, v12 :: v_dual_add_f32 v91, v100, v102
	s_waitcnt lgkmcnt(1)
	v_dual_add_f32 v2, v52, v10 :: v_dual_add_f32 v89, v70, v100
	v_dual_sub_f32 v17, v88, v90 :: v_dual_add_f32 v10, v67, v8
	v_add_f32_e32 v99, v104, v105
	v_dual_add_f32 v8, v8, v13 :: v_dual_add_f32 v93, v71, v4
	v_add_f32_e32 v50, v96, v98
	s_waitcnt lgkmcnt(0)
	v_dual_sub_f32 v48, v92, v94 :: v_dual_add_f32 v101, v73, v0
	s_delay_alu instid0(VALU_DEP_3)
	v_dual_sub_f32 v88, v96, v98 :: v_dual_fmac_f32 v67, -0.5, v8
	v_add_f32_e32 v95, v4, v14
	v_dual_sub_f32 v96, v100, v102 :: v_dual_fmac_f32 v69, -0.5, v9
	v_sub_f32_e32 v100, v0, v15
	v_dual_add_f32 v103, v0, v15 :: v_dual_add_f32 v0, v1, v90
	v_fma_f32 v51, -0.5, v5, v51
	v_fmac_f32_e32 v52, -0.5, v6
	v_fma_f32 v66, -0.5, v7, v66
	s_delay_alu instid0(VALU_DEP_4)
	v_fmac_f32_e32 v73, -0.5, v103
	v_add_f32_e32 v97, v72, v104
	v_add_f32_e32 v1, v2, v12
	v_fma_f32 v68, -0.5, v50, v68
	v_dual_sub_f32 v92, v4, v14 :: v_dual_add_f32 v5, v65, v11
	v_dual_sub_f32 v104, v104, v105 :: v_dual_fmac_f32 v71, -0.5, v95
	v_dual_add_f32 v2, v3, v94 :: v_dual_add_f32 v9, v101, v15
	v_add_f32_e32 v3, v10, v13
	v_fma_f32 v70, -0.5, v91, v70
	v_fma_f32 v72, -0.5, v99, v72
	v_fmamk_f32 v10, v16, 0xbf5db3d7, v51
	v_fmamk_f32 v11, v17, 0x3f5db3d7, v52
	v_dual_add_f32 v4, v49, v98 :: v_dual_fmac_f32 v51, 0x3f5db3d7, v16
	v_fmac_f32_e32 v52, 0xbf5db3d7, v17
	v_dual_add_f32 v6, v89, v102 :: v_dual_fmamk_f32 v13, v48, 0x3f5db3d7, v67
	v_fmamk_f32 v12, v47, 0xbf5db3d7, v66
	v_dual_add_f32 v8, v97, v105 :: v_dual_fmac_f32 v67, 0xbf5db3d7, v48
	v_dual_fmac_f32 v66, 0x3f5db3d7, v47 :: v_dual_fmamk_f32 v15, v88, 0x3f5db3d7, v69
	v_lshl_add_u32 v75, v75, 3, 0
	v_dual_add_f32 v7, v93, v14 :: v_dual_fmamk_f32 v14, v64, 0xbf5db3d7, v68
	s_barrier
	buffer_gl0_inv
	v_lshl_add_u32 v76, v76, 3, 0
	v_lshl_add_u32 v61, v61, 3, 0
	v_dual_fmac_f32 v68, 0x3f5db3d7, v64 :: v_dual_fmamk_f32 v17, v96, 0x3f5db3d7, v71
	v_dual_fmac_f32 v69, 0xbf5db3d7, v88 :: v_dual_fmamk_f32 v16, v92, 0xbf5db3d7, v70
	v_fmac_f32_e32 v70, 0x3f5db3d7, v92
	v_fmac_f32_e32 v71, 0xbf5db3d7, v96
	v_fmamk_f32 v47, v100, 0xbf5db3d7, v72
	v_fmac_f32_e32 v72, 0x3f5db3d7, v100
	v_fmamk_f32 v48, v104, 0x3f5db3d7, v73
	v_fmac_f32_e32 v73, 0xbf5db3d7, v104
	ds_store_2addr_b64 v82, v[0:1], v[10:11] offset1:2
	ds_store_b64 v82, v[51:52] offset:32
	ds_store_2addr_b64 v86, v[2:3], v[12:13] offset1:2
	ds_store_b64 v86, v[66:67] offset:32
	;; [unrolled: 2-line block ×5, first 2 shown]
	s_waitcnt lgkmcnt(0)
	s_barrier
	buffer_gl0_inv
	s_clause 0x1
	global_load_b128 v[6:9], v84, s[4:5] offset:32
	global_load_b128 v[10:13], v87, s[4:5] offset:32
	v_mul_u32_u24_e32 v81, 0xaaab, v74
	v_and_b32_e32 v51, 0xffff, v83
	v_lshlrev_b32_e32 v0, 4, v46
	v_mul_u32_u24_e32 v3, 0xe38f, v38
	v_mul_u32_u24_e32 v4, 0xe38f, v43
	v_lshrrev_b32_e32 v81, 18, v81
	v_lshlrev_b32_e32 v2, 4, v51
	global_load_b128 v[14:17], v0, s[4:5] offset:32
	v_and_b32_e32 v38, 0xffff, v77
	v_mul_u32_u24_e32 v5, 0xe38f, v74
	v_mul_lo_u16 v85, v81, 6
	global_load_b128 v[47:50], v2, s[4:5] offset:32
	v_mul_lo_u16 v2, v62, 57
	v_and_b32_e32 v43, 0xffff, v78
	v_mul_u32_u24_e32 v38, 0x90, v38
	v_sub_nc_u16 v1, v32, v85
	v_lshrrev_b32_e32 v4, 20, v4
	v_lshrrev_b16 v2, 10, v2
	v_mul_u32_u24_e32 v74, 0x90, v43
	v_lshlrev_b32_e32 v43, 3, v44
	v_and_b32_e32 v52, 0xffff, v1
	v_mul_lo_u16 v1, v63, 57
	v_mul_lo_u16 v70, v2, 18
	;; [unrolled: 1-line block ×3, first 2 shown]
	v_add3_u32 v38, 0, v38, v43
	v_lshrrev_b32_e32 v3, 20, v3
	v_lshrrev_b16 v1, 10, v1
	v_sub_nc_u16 v70, v28, v70
	v_sub_nc_u16 v93, v33, v73
	v_mul_u32_u24_e32 v61, 0x90, v79
	v_mul_lo_u16 v72, v3, 18
	v_mul_lo_u16 v69, v1, 18
	v_and_b32_e32 v95, 0xff, v70
	v_lshlrev_b32_e32 v70, 3, v46
	v_mul_u32_u24_e32 v68, 0x90, v80
	v_sub_nc_u16 v72, v34, v72
	v_sub_nc_u16 v69, v24, v69
	v_mul_u32_u24_e32 v71, 0x90, v81
	v_add3_u32 v61, 0, v61, v70
	v_and_b32_e32 v2, 0xffff, v2
	v_and_b32_e32 v96, 0xffff, v72
	;; [unrolled: 1-line block ×3, first 2 shown]
	v_lshlrev_b32_e32 v69, 3, v45
	ds_load_2addr_b64 v[43:46], v19 offset0:108 offset1:234
	v_lshlrev_b32_e32 v72, 3, v51
	v_lshrrev_b32_e32 v5, 20, v5
	v_sub_nc_u32_e32 v40, 0, v40
	v_add3_u32 v99, 0, v74, v69
	s_delay_alu instid0(VALU_DEP_4) | instskip(NEXT) | instid1(VALU_DEP_4)
	v_add3_u32 v100, 0, v68, v72
	v_mul_lo_u16 v92, v5, 18
	v_mul_u32_u24_e32 v5, 0x1b0, v5
	s_waitcnt vmcnt(3) lgkmcnt(0)
	v_mul_f32_e32 v103, v9, v44
	v_dual_mul_f32 v9, v9, v43 :: v_dual_lshlrev_b32 v0, 4, v52
	s_waitcnt vmcnt(2)
	v_dual_mul_f32 v104, v13, v46 :: v_dual_lshlrev_b32 v73, 3, v52
	v_mul_f32_e32 v13, v13, v45
	ds_load_b64 v[51:52], v37
	global_load_b128 v[64:67], v0, s[4:5] offset:32
	ds_load_b64 v[76:77], v53
	ds_load_b64 v[78:79], v53 offset:6048
	v_add_nc_u32_e32 v0, 0x1800, v53
	v_add3_u32 v101, 0, v71, v73
	v_fmac_f32_e32 v103, v8, v43
	v_fma_f32 v8, v8, v44, -v9
	v_fmac_f32_e32 v104, v12, v45
	v_fma_f32 v12, v12, v46, -v13
	s_waitcnt lgkmcnt(2)
	v_mul_f32_e32 v102, v7, v52
	v_mul_f32_e32 v7, v7, v51
	s_waitcnt lgkmcnt(0)
	v_mul_f32_e32 v105, v11, v79
	ds_load_2addr_b32 v[80:81], v0 offset0:228 offset1:229
	ds_load_2addr_b64 v[68:71], v20 offset0:104 offset1:230
	ds_load_b64 v[82:83], v53 offset:14112
	ds_load_2addr_b64 v[72:75], v18 offset0:112 offset1:238
	ds_load_b64 v[84:85], v42
	ds_load_b64 v[86:87], v21
	;; [unrolled: 1-line block ×4, first 2 shown]
	v_dual_mul_f32 v11, v11, v78 :: v_dual_fmac_f32 v102, v6, v51
	v_lshlrev_b32_e32 v98, 4, v95
	v_fma_f32 v6, v6, v52, -v7
	v_fmac_f32_e32 v105, v10, v78
	s_delay_alu instid0(VALU_DEP_4)
	v_fma_f32 v10, v10, v79, -v11
	v_add_f32_e32 v45, v102, v103
	s_waitcnt vmcnt(0) lgkmcnt(0)
	v_sub_f32_e32 v46, v6, v8
	s_barrier
	buffer_gl0_inv
	v_mul_f32_e32 v107, v69, v17
	v_dual_mul_f32 v17, v68, v17 :: v_dual_mul_f32 v108, v71, v50
	v_dual_mul_f32 v50, v70, v50 :: v_dual_mul_f32 v7, v73, v48
	s_delay_alu instid0(VALU_DEP_3)
	v_dual_fmac_f32 v107, v68, v16 :: v_dual_mul_f32 v106, v81, v15
	v_mul_f32_e32 v15, v15, v80
	v_mul_f32_e32 v48, v72, v48
	v_fma_f32 v13, v69, v16, -v17
	v_fmac_f32_e32 v108, v70, v49
	v_dual_fmac_f32 v106, v14, v80 :: v_dual_fmac_f32 v7, v72, v47
	v_fma_f32 v11, v81, v14, -v15
	v_fma_f32 v14, v71, v49, -v50
	v_sub_f32_e32 v49, v102, v103
	v_dual_add_f32 v50, v84, v105 :: v_dual_lshlrev_b32 v97, 4, v94
	s_delay_alu instid0(VALU_DEP_4) | instskip(SKIP_2) | instid1(VALU_DEP_1)
	v_sub_f32_e32 v68, v11, v13
	v_add_f32_e32 v70, v11, v13
	v_add_f32_e32 v69, v87, v11
	v_add_f32_e32 v11, v69, v13
	v_mul_f32_e32 v9, v75, v65
	v_dual_mul_f32 v43, v74, v65 :: v_dual_mul_f32 v44, v83, v67
	v_mul_f32_e32 v51, v82, v67
	v_fma_f32 v15, v73, v47, -v48
	s_delay_alu instid0(VALU_DEP_4) | instskip(NEXT) | instid1(VALU_DEP_4)
	v_fmac_f32_e32 v9, v74, v64
	v_fma_f32 v16, v75, v64, -v43
	v_fmac_f32_e32 v44, v82, v66
	v_fma_f32 v17, v83, v66, -v51
	v_add_f32_e32 v51, v105, v104
	v_add_f32_e32 v48, v6, v8
	v_dual_sub_f32 v52, v10, v12 :: v_dual_add_f32 v75, v89, v15
	v_add_f32_e32 v64, v85, v10
	v_add_f32_e32 v10, v10, v12
	;; [unrolled: 1-line block ×5, first 2 shown]
	v_dual_sub_f32 v71, v106, v107 :: v_dual_sub_f32 v74, v15, v14
	v_dual_add_f32 v72, v88, v7 :: v_dual_add_f32 v73, v7, v108
	v_dual_add_f32 v15, v15, v14 :: v_dual_add_f32 v80, v9, v44
	v_dual_sub_f32 v81, v16, v17 :: v_dual_add_f32 v82, v91, v16
	v_dual_fmac_f32 v85, -0.5, v10 :: v_dual_add_f32 v16, v16, v17
	v_sub_f32_e32 v83, v9, v44
	v_fma_f32 v76, -0.5, v45, v76
	v_fmac_f32_e32 v77, -0.5, v48
	v_dual_sub_f32 v65, v105, v104 :: v_dual_add_f32 v66, v86, v106
	v_dual_sub_f32 v78, v7, v108 :: v_dual_add_f32 v79, v90, v9
	v_fma_f32 v84, -0.5, v51, v84
	v_fma_f32 v86, -0.5, v67, v86
	v_dual_fmac_f32 v87, -0.5, v70 :: v_dual_add_f32 v6, v43, v103
	v_add_f32_e32 v9, v64, v12
	v_dual_add_f32 v7, v47, v8 :: v_dual_add_f32 v10, v66, v107
	v_fma_f32 v88, -0.5, v73, v88
	v_fmac_f32_e32 v89, -0.5, v15
	v_fma_f32 v90, -0.5, v80, v90
	v_add_f32_e32 v15, v82, v17
	v_dual_fmac_f32 v91, -0.5, v16 :: v_dual_fmamk_f32 v16, v46, 0xbf5db3d7, v76
	v_dual_fmamk_f32 v17, v49, 0x3f5db3d7, v77 :: v_dual_fmac_f32 v76, 0x3f5db3d7, v46
	v_dual_fmac_f32 v77, 0xbf5db3d7, v49 :: v_dual_add_f32 v8, v50, v104
	v_add_f32_e32 v13, v75, v14
	v_dual_add_f32 v14, v79, v44 :: v_dual_fmamk_f32 v43, v52, 0xbf5db3d7, v84
	v_fmamk_f32 v44, v65, 0x3f5db3d7, v85
	v_fmac_f32_e32 v84, 0x3f5db3d7, v52
	v_dual_fmac_f32 v85, 0xbf5db3d7, v65 :: v_dual_add_f32 v12, v72, v108
	v_fmamk_f32 v45, v68, 0xbf5db3d7, v86
	v_fmamk_f32 v46, v71, 0x3f5db3d7, v87
	v_fmac_f32_e32 v86, 0x3f5db3d7, v68
	v_fmac_f32_e32 v87, 0xbf5db3d7, v71
	v_fmamk_f32 v47, v74, 0xbf5db3d7, v88
	v_fmac_f32_e32 v88, 0x3f5db3d7, v74
	v_fmamk_f32 v48, v78, 0x3f5db3d7, v89
	;; [unrolled: 2-line block ×3, first 2 shown]
	v_dual_fmac_f32 v90, 0x3f5db3d7, v81 :: v_dual_lshlrev_b32 v67, 3, v95
	v_fmamk_f32 v50, v83, 0x3f5db3d7, v91
	v_fmac_f32_e32 v91, 0xbf5db3d7, v83
	v_mul_u32_u24_e32 v66, 0x1b0, v2
	v_lshlrev_b32_e32 v2, 3, v94
	v_lshlrev_b32_e32 v68, 3, v96
	ds_store_2addr_b64 v38, v[6:7], v[16:17] offset1:6
	ds_store_b64 v38, v[76:77] offset:96
	ds_store_2addr_b64 v99, v[8:9], v[43:44] offset1:6
	ds_store_b64 v99, v[84:85] offset:96
	;; [unrolled: 2-line block ×5, first 2 shown]
	s_waitcnt lgkmcnt(0)
	s_barrier
	buffer_gl0_inv
	global_load_b128 v[6:9], v97, s[4:5] offset:128
	v_sub_nc_u16 v14, v32, v92
	v_lshlrev_b32_e32 v15, 4, v96
	global_load_b128 v[10:13], v98, s[4:5] offset:128
	v_and_b32_e32 v1, 0xffff, v1
	v_mul_u32_u24_e32 v64, 0x1b0, v3
	v_and_b32_e32 v51, 0xffff, v14
	global_load_b128 v[14:17], v15, s[4:5] offset:128
	v_and_b32_e32 v38, 0xffff, v93
	v_mul_u32_u24_e32 v1, 0x1b0, v1
	v_mul_u32_u24_e32 v65, 0x1b0, v4
	v_lshlrev_b32_e32 v47, 4, v51
	v_lshlrev_b32_e32 v69, 3, v51
	v_lshlrev_b32_e32 v43, 4, v38
	s_clause 0x1
	global_load_b128 v[43:46], v43, s[4:5] offset:128
	global_load_b128 v[47:50], v47, s[4:5] offset:128
	ds_load_b64 v[51:52], v37
	v_add3_u32 v83, 0, v1, v2
	ds_load_2addr_b64 v[1:4], v19 offset0:108 offset1:234
	ds_load_b64 v[72:73], v53
	ds_load_b64 v[74:75], v53 offset:6048
	v_add3_u32 v87, 0, v5, v69
	v_add3_u32 v84, 0, v66, v67
	;; [unrolled: 1-line block ×3, first 2 shown]
	ds_load_2addr_b32 v[76:77], v0 offset0:228 offset1:229
	v_add_nc_u32_e32 v82, 0x2800, v53
	s_waitcnt vmcnt(4) lgkmcnt(4)
	v_dual_mul_f32 v5, v7, v52 :: v_dual_add_nc_u32 v80, 0x1000, v53
	v_dual_mul_f32 v7, v7, v51 :: v_dual_lshlrev_b32 v38, 3, v38
	s_waitcnt vmcnt(3) lgkmcnt(1)
	v_dual_mul_f32 v88, v9, v2 :: v_dual_mul_f32 v89, v11, v75
	v_dual_mul_f32 v11, v11, v74 :: v_dual_mul_f32 v90, v13, v4
	s_delay_alu instid0(VALU_DEP_3) | instskip(NEXT) | instid1(VALU_DEP_3)
	v_add3_u32 v86, 0, v65, v38
	v_fmac_f32_e32 v88, v8, v1
	ds_load_2addr_b64 v[64:67], v20 offset0:104 offset1:230
	ds_load_2addr_b64 v[68:71], v18 offset0:112 offset1:238
	ds_load_b64 v[18:19], v42
	ds_load_b64 v[20:21], v21
	;; [unrolled: 1-line block ×4, first 2 shown]
	ds_load_b64 v[22:23], v53 offset:14112
	v_add_nc_u32_e32 v61, 0x800, v53
	v_mul_f32_e32 v9, v9, v1
	v_fma_f32 v1, v10, v75, -v11
	v_dual_fmac_f32 v90, v12, v3 :: v_dual_add_nc_u32 v81, 0x2000, v53
	s_waitcnt vmcnt(0) lgkmcnt(0)
	s_delay_alu instid0(VALU_DEP_3)
	v_fma_f32 v2, v8, v2, -v9
	s_barrier
	buffer_gl0_inv
	v_mul_f32_e32 v92, v65, v17
	v_dual_mul_f32 v13, v13, v3 :: v_dual_mul_f32 v94, v67, v46
	v_dual_mul_f32 v91, v77, v15 :: v_dual_mul_f32 v46, v66, v46
	s_delay_alu instid0(VALU_DEP_3) | instskip(SKIP_1) | instid1(VALU_DEP_4)
	v_fmac_f32_e32 v92, v64, v16
	v_mul_f32_e32 v96, v23, v50
	v_dual_fmac_f32 v94, v66, v45 :: v_dual_mul_f32 v15, v15, v76
	v_fma_f32 v4, v12, v4, -v13
	v_mul_f32_e32 v50, v22, v50
	s_delay_alu instid0(VALU_DEP_4) | instskip(SKIP_3) | instid1(VALU_DEP_3)
	v_fmac_f32_e32 v96, v22, v49
	v_fmac_f32_e32 v5, v6, v51
	v_fma_f32 v6, v6, v52, -v7
	v_dual_sub_f32 v22, v1, v4 :: v_dual_mul_f32 v17, v64, v17
	v_dual_mul_f32 v93, v69, v44 :: v_dual_add_f32 v12, v72, v5
	v_mul_f32_e32 v44, v68, v44
	v_mul_f32_e32 v95, v71, v48
	;; [unrolled: 1-line block ×3, first 2 shown]
	v_fmac_f32_e32 v89, v10, v74
	v_fmac_f32_e32 v91, v14, v76
	v_fma_f32 v3, v77, v14, -v15
	v_fma_f32 v8, v69, v43, -v44
	v_fma_f32 v9, v67, v45, -v46
	v_fma_f32 v10, v71, v47, -v48
	v_dual_add_f32 v13, v5, v88 :: v_dual_sub_f32 v14, v6, v2
	v_fma_f32 v7, v65, v16, -v17
	s_delay_alu instid0(VALU_DEP_4)
	v_dual_sub_f32 v64, v8, v9 :: v_dual_add_f32 v15, v73, v6
	v_add_f32_e32 v66, v8, v9
	v_add_f32_e32 v6, v6, v2
	v_dual_sub_f32 v16, v5, v88 :: v_dual_add_f32 v5, v18, v89
	v_add_f32_e32 v48, v21, v3
	v_dual_sub_f32 v44, v89, v90 :: v_dual_fmac_f32 v93, v68, v43
	v_add_f32_e32 v46, v91, v92
	v_fma_f32 v11, v23, v49, -v50
	v_add_f32_e32 v17, v89, v90
	v_dual_fmac_f32 v95, v70, v47 :: v_dual_sub_f32 v50, v91, v92
	v_dual_add_f32 v45, v20, v91 :: v_dual_add_f32 v2, v15, v2
	v_add_f32_e32 v65, v79, v8
	v_fma_f32 v20, -0.5, v46, v20
	v_dual_fmac_f32 v73, -0.5, v6 :: v_dual_add_f32 v6, v48, v7
	s_delay_alu instid0(VALU_DEP_3)
	v_dual_sub_f32 v47, v3, v7 :: v_dual_add_f32 v8, v65, v9
	v_dual_add_f32 v23, v19, v1 :: v_dual_add_f32 v52, v93, v94
	v_dual_add_f32 v43, v1, v4 :: v_dual_add_f32 v74, v10, v11
	v_add_f32_e32 v49, v3, v7
	v_sub_f32_e32 v70, v10, v11
	v_fma_f32 v18, -0.5, v17, v18
	v_fma_f32 v72, -0.5, v13, v72
	v_add_f32_e32 v69, v95, v96
	v_fmamk_f32 v15, v47, 0xbf5db3d7, v20
	v_dual_fmac_f32 v20, 0x3f5db3d7, v47 :: v_dual_add_f32 v71, v38, v10
	v_dual_add_f32 v51, v78, v93 :: v_dual_add_f32 v68, v37, v95
	v_fma_f32 v78, -0.5, v52, v78
	v_fmac_f32_e32 v19, -0.5, v43
	v_dual_sub_f32 v67, v93, v94 :: v_dual_add_f32 v4, v23, v4
	v_dual_sub_f32 v75, v95, v96 :: v_dual_fmac_f32 v38, -0.5, v74
	v_fmac_f32_e32 v21, -0.5, v49
	v_fmamk_f32 v13, v22, 0xbf5db3d7, v18
	v_fmac_f32_e32 v18, 0x3f5db3d7, v22
	v_fmac_f32_e32 v79, -0.5, v66
	v_add_f32_e32 v1, v12, v88
	v_fmamk_f32 v12, v16, 0x3f5db3d7, v73
	v_dual_add_f32 v10, v71, v11 :: v_dual_fmamk_f32 v11, v14, 0xbf5db3d7, v72
	v_fmac_f32_e32 v72, 0x3f5db3d7, v14
	v_fma_f32 v37, -0.5, v69, v37
	v_dual_fmac_f32 v73, 0xbf5db3d7, v16 :: v_dual_fmamk_f32 v22, v64, 0xbf5db3d7, v78
	v_dual_add_f32 v3, v5, v90 :: v_dual_fmamk_f32 v14, v44, 0x3f5db3d7, v19
	v_fmac_f32_e32 v19, 0xbf5db3d7, v44
	v_add_f32_e32 v7, v51, v94
	v_add_f32_e32 v9, v68, v96
	v_fmac_f32_e32 v78, 0x3f5db3d7, v64
	v_dual_add_f32 v5, v45, v92 :: v_dual_fmamk_f32 v16, v50, 0x3f5db3d7, v21
	v_fmac_f32_e32 v21, 0xbf5db3d7, v50
	v_fmamk_f32 v44, v75, 0x3f5db3d7, v38
	v_fmamk_f32 v23, v67, 0x3f5db3d7, v79
	v_fmac_f32_e32 v79, 0xbf5db3d7, v67
	v_fmamk_f32 v43, v70, 0xbf5db3d7, v37
	v_fmac_f32_e32 v37, 0x3f5db3d7, v70
	v_fmac_f32_e32 v38, 0xbf5db3d7, v75
	ds_store_2addr_b64 v83, v[1:2], v[11:12] offset1:18
	ds_store_b64 v83, v[72:73] offset:288
	ds_store_2addr_b64 v84, v[3:4], v[13:14] offset1:18
	ds_store_b64 v84, v[18:19] offset:288
	;; [unrolled: 2-line block ×5, first 2 shown]
	s_waitcnt lgkmcnt(0)
	s_barrier
	buffer_gl0_inv
	ds_load_2addr_b64 v[20:23], v61 offset0:14 offset1:140
	ds_load_2addr_b64 v[16:19], v80 offset0:28 offset1:154
	;; [unrolled: 1-line block ×6, first 2 shown]
	ds_load_b64 v[51:52], v53
	ds_load_b64 v[49:50], v42
	v_add_nc_u32_e32 v61, v39, v40
                                        ; implicit-def: $vgpr40
                                        ; implicit-def: $vgpr42
                                        ; implicit-def: $vgpr48
                                        ; implicit-def: $vgpr46
                                        ; implicit-def: $vgpr44
	s_and_saveexec_b32 s2, s1
	s_cbranch_execz .LBB0_17
; %bb.16:
	ds_load_b64 v[35:36], v53 offset:4176
	ds_load_b64 v[39:40], v53 offset:6336
	ds_load_b64 v[43:44], v53 offset:8496
	ds_load_b64 v[41:42], v53 offset:10656
	ds_load_b64 v[45:46], v53 offset:12816
	ds_load_b64 v[37:38], v61
	ds_load_b64 v[47:48], v53 offset:14976
.LBB0_17:
	s_or_b32 exec_lo, exec_lo, s2
	v_mul_lo_u16 v63, v63, 19
	v_mul_lo_u16 v62, v62, 19
	v_sub_nc_u32_e32 v59, 0, v59
	v_sub_nc_u32_e32 v60, 0, v60
	s_delay_alu instid0(VALU_DEP_4) | instskip(NEXT) | instid1(VALU_DEP_4)
	v_lshrrev_b16 v86, 10, v63
	v_lshrrev_b16 v87, 10, v62
	s_delay_alu instid0(VALU_DEP_2) | instskip(NEXT) | instid1(VALU_DEP_2)
	v_mul_lo_u16 v63, v86, 54
	v_mul_lo_u16 v62, v87, 54
	s_delay_alu instid0(VALU_DEP_2) | instskip(NEXT) | instid1(VALU_DEP_2)
	v_sub_nc_u16 v63, v24, v63
	v_sub_nc_u16 v62, v28, v62
	s_delay_alu instid0(VALU_DEP_2) | instskip(NEXT) | instid1(VALU_DEP_2)
	v_and_b32_e32 v88, 0xff, v63
	v_and_b32_e32 v89, 0xff, v62
	s_delay_alu instid0(VALU_DEP_2) | instskip(NEXT) | instid1(VALU_DEP_1)
	v_mul_u32_u24_e32 v63, 6, v88
	v_lshlrev_b32_e32 v70, 3, v63
	s_clause 0x1
	global_load_b128 v[62:65], v70, s[4:5] offset:416
	global_load_b128 v[66:69], v70, s[4:5] offset:432
	v_and_b32_e32 v87, 0xffff, v87
	v_and_b32_e32 v86, 0xffff, v86
	s_waitcnt vmcnt(1) lgkmcnt(7)
	v_mul_f32_e32 v90, v63, v21
	v_mul_u32_u24_e32 v71, 6, v89
	s_waitcnt lgkmcnt(6)
	v_mul_f32_e32 v91, v65, v17
	s_waitcnt vmcnt(0) lgkmcnt(5)
	v_mul_f32_e32 v92, v67, v13
	v_mul_f32_e32 v67, v67, v12
	v_dual_mul_f32 v65, v65, v16 :: v_dual_lshlrev_b32 v82, 3, v71
	v_mul_u32_u24_e32 v87, 0xbd0, v87
	v_mul_u32_u24_e32 v86, 0xbd0, v86
	s_clause 0x3
	global_load_b128 v[70:73], v70, s[4:5] offset:448
	global_load_b128 v[74:77], v82, s[4:5] offset:416
	global_load_b128 v[78:81], v82, s[4:5] offset:432
	global_load_b128 v[82:85], v82, s[4:5] offset:448
	v_lshlrev_b32_e32 v89, 3, v89
	v_mul_f32_e32 v63, v63, v20
	s_waitcnt lgkmcnt(4)
	v_dual_mul_f32 v93, v69, v5 :: v_dual_lshlrev_b32 v88, 3, v88
	v_mul_f32_e32 v69, v69, v4
	s_waitcnt vmcnt(0) lgkmcnt(0)
	s_barrier
	s_delay_alu instid0(VALU_DEP_2)
	v_add3_u32 v86, 0, v86, v88
	buffer_gl0_inv
	v_fmac_f32_e32 v90, v62, v20
	v_fma_f32 v20, v62, v21, -v63
	v_fmac_f32_e32 v92, v66, v12
	v_add_nc_u32_e32 v88, 0x400, v86
	v_fma_f32 v12, v66, v13, -v67
	v_dual_mul_f32 v95, v73, v9 :: v_dual_mul_f32 v96, v75, v23
	v_mul_f32_e32 v98, v15, v79
	v_add3_u32 v87, 0, v87, v89
	v_dual_mul_f32 v73, v73, v8 :: v_dual_mul_f32 v100, v3, v83
	v_mul_f32_e32 v94, v71, v1
	v_dual_mul_f32 v71, v71, v0 :: v_dual_fmac_f32 v96, v74, v22
	s_delay_alu instid0(VALU_DEP_4)
	v_add_nc_u32_e32 v89, 0x400, v87
	v_dual_mul_f32 v99, v7, v81 :: v_dual_fmac_f32 v98, v14, v78
	v_mul_f32_e32 v75, v75, v22
	v_mul_f32_e32 v97, v77, v19
	v_dual_mul_f32 v77, v77, v18 :: v_dual_fmac_f32 v94, v70, v0
	v_dual_mul_f32 v101, v11, v85 :: v_dual_fmac_f32 v100, v2, v82
	v_fma_f32 v0, v70, v1, -v71
	v_fma_f32 v1, v72, v9, -v73
	v_mul_f32_e32 v79, v14, v79
	v_fmac_f32_e32 v99, v6, v80
	v_fmac_f32_e32 v91, v64, v16
	v_fma_f32 v16, v64, v17, -v65
	v_mul_f32_e32 v81, v6, v81
	v_mul_f32_e32 v83, v2, v83
	v_dual_fmac_f32 v93, v68, v4 :: v_dual_sub_f32 v62, v99, v98
	v_mul_f32_e32 v85, v10, v85
	v_fma_f32 v4, v68, v5, -v69
	v_add_f32_e32 v14, v16, v0
	v_fma_f32 v6, v7, v80, -v81
	v_sub_f32_e32 v0, v16, v0
	v_fma_f32 v2, v3, v82, -v83
	v_dual_fmac_f32 v101, v10, v84 :: v_dual_add_f32 v10, v20, v1
	v_fma_f32 v9, v15, v78, -v79
	v_fmac_f32_e32 v95, v72, v8
	v_fma_f32 v8, v76, v19, -v77
	v_fma_f32 v5, v74, v23, -v75
	v_add_f32_e32 v16, v92, v93
	v_add_f32_e32 v17, v12, v4
	v_sub_f32_e32 v4, v4, v12
	v_add_f32_e32 v21, v8, v2
	v_sub_f32_e32 v2, v8, v2
	v_dual_add_f32 v8, v98, v99 :: v_dual_add_f32 v13, v91, v94
	v_sub_f32_e32 v15, v91, v94
	v_dual_add_f32 v23, v9, v6 :: v_dual_sub_f32 v6, v6, v9
	v_add_f32_e32 v7, v90, v95
	v_dual_fmac_f32 v97, v76, v18 :: v_dual_sub_f32 v18, v93, v92
	v_fma_f32 v3, v11, v84, -v85
	v_dual_sub_f32 v11, v90, v95 :: v_dual_add_f32 v12, v96, v101
	s_delay_alu instid0(VALU_DEP_4) | instskip(NEXT) | instid1(VALU_DEP_4)
	v_dual_add_f32 v63, v14, v10 :: v_dual_sub_f32 v64, v13, v7
	v_dual_sub_f32 v1, v20, v1 :: v_dual_sub_f32 v22, v97, v100
	s_delay_alu instid0(VALU_DEP_4) | instskip(NEXT) | instid1(VALU_DEP_2)
	v_dual_add_f32 v19, v5, v3 :: v_dual_sub_f32 v20, v96, v101
	v_dual_sub_f32 v3, v5, v3 :: v_dual_sub_f32 v70, v0, v1
	s_delay_alu instid0(VALU_DEP_3)
	v_dual_add_f32 v9, v13, v7 :: v_dual_add_f32 v74, v62, v22
	v_sub_f32_e32 v65, v14, v10
	v_dual_sub_f32 v10, v10, v17 :: v_dual_add_f32 v5, v97, v100
	v_sub_f32_e32 v68, v18, v15
	v_dual_add_f32 v66, v18, v15 :: v_dual_sub_f32 v7, v7, v16
	v_dual_sub_f32 v14, v17, v14 :: v_dual_sub_f32 v13, v16, v13
	v_dual_sub_f32 v76, v62, v22 :: v_dual_add_f32 v67, v4, v0
	v_dual_sub_f32 v69, v4, v0 :: v_dual_sub_f32 v78, v2, v3
	v_sub_f32_e32 v18, v11, v18
	v_dual_sub_f32 v4, v1, v4 :: v_dual_sub_f32 v15, v15, v11
	v_sub_f32_e32 v62, v20, v62
	v_add_f32_e32 v0, v5, v12
	v_dual_add_f32 v71, v21, v19 :: v_dual_sub_f32 v22, v22, v20
	v_sub_f32_e32 v72, v5, v12
	v_dual_sub_f32 v73, v21, v19 :: v_dual_sub_f32 v12, v12, v8
	v_sub_f32_e32 v5, v8, v5
	v_sub_f32_e32 v21, v23, v21
	v_add_f32_e32 v75, v6, v2
	v_dual_sub_f32 v77, v6, v2 :: v_dual_add_f32 v8, v8, v0
	v_dual_add_f32 v9, v16, v9 :: v_dual_add_f32 v20, v74, v20
	v_add_f32_e32 v16, v17, v63
	v_mul_f32_e32 v2, 0x3f4a47b2, v7
	v_sub_f32_e32 v19, v19, v23
	v_dual_sub_f32 v6, v3, v6 :: v_dual_add_f32 v11, v66, v11
	v_dual_mul_f32 v12, 0x3f4a47b2, v12 :: v_dual_add_f32 v17, v67, v1
	v_mul_f32_e32 v76, 0x3f08b237, v76
	v_dual_mul_f32 v7, 0x3f4a47b2, v10 :: v_dual_add_f32 v0, v9, v51
	v_dual_mul_f32 v10, 0x3d64c772, v13 :: v_dual_mul_f32 v63, 0x3d64c772, v14
	v_mul_f32_e32 v74, 0x3d64c772, v5
	v_mul_f32_e32 v66, 0x3f08b237, v68
	;; [unrolled: 1-line block ×3, first 2 shown]
	v_dual_add_f32 v23, v23, v71 :: v_dual_mul_f32 v80, 0xbf5ff5aa, v78
	v_add_f32_e32 v1, v16, v52
	v_fmamk_f32 v13, v13, 0x3d64c772, v2
	v_mul_f32_e32 v67, 0x3f08b237, v69
	v_mul_f32_e32 v69, 0xbf5ff5aa, v70
	v_fma_f32 v52, 0xbf3bfb3b, v64, -v2
	v_add_f32_e32 v2, v8, v49
	v_mul_f32_e32 v77, 0x3f08b237, v77
	v_dual_add_f32 v71, v75, v3 :: v_dual_fmamk_f32 v14, v14, 0x3d64c772, v7
	v_fma_f32 v51, 0x3f3bfb3b, v65, -v63
	v_fmamk_f32 v63, v18, 0xbeae86e6, v66
	v_fma_f32 v15, 0xbf5ff5aa, v15, -v66
	v_fma_f32 v18, 0x3eae86e6, v18, -v68
	;; [unrolled: 1-line block ×3, first 2 shown]
	v_dual_add_f32 v3, v23, v50 :: v_dual_fmamk_f32 v68, v6, 0xbeae86e6, v77
	v_fma_f32 v69, 0x3eae86e6, v6, -v80
	v_fmamk_f32 v6, v9, 0xbf955555, v0
	v_fma_f32 v10, 0x3f3bfb3b, v64, -v10
	v_fma_f32 v7, 0xbf3bfb3b, v65, -v7
	v_dual_fmac_f32 v15, 0xbee1c552, v11 :: v_dual_fmac_f32 v66, 0xbee1c552, v17
	s_delay_alu instid0(VALU_DEP_4) | instskip(SKIP_3) | instid1(VALU_DEP_3)
	v_dual_fmamk_f32 v9, v16, 0xbf955555, v1 :: v_dual_add_f32 v16, v13, v6
	v_fmamk_f32 v64, v4, 0xbeae86e6, v67
	v_fma_f32 v65, 0xbf5ff5aa, v70, -v67
	v_dual_mul_f32 v19, 0x3f4a47b2, v19 :: v_dual_add_f32 v10, v10, v6
	v_dual_fmac_f32 v63, 0xbee1c552, v11 :: v_dual_fmac_f32 v64, 0xbee1c552, v17
	s_delay_alu instid0(VALU_DEP_3) | instskip(SKIP_4) | instid1(VALU_DEP_4)
	v_dual_fmac_f32 v65, 0xbee1c552, v17 :: v_dual_fmac_f32 v18, 0xbee1c552, v11
	v_dual_add_f32 v17, v14, v9 :: v_dual_add_f32 v14, v52, v6
	v_dual_mul_f32 v75, 0x3d64c772, v21 :: v_dual_fmamk_f32 v4, v5, 0x3d64c772, v12
	v_fma_f32 v50, 0xbf5ff5aa, v22, -v76
	v_dual_fmamk_f32 v8, v8, 0xbf955555, v2 :: v_dual_fmamk_f32 v11, v23, 0xbf955555, v3
	v_add_f32_e32 v6, v66, v14
	v_mul_f32_e32 v79, 0xbf5ff5aa, v22
	v_fma_f32 v22, 0xbf5ff5aa, v78, -v77
	v_fmamk_f32 v5, v21, 0x3d64c772, v19
	v_add_f32_e32 v13, v51, v9
	v_add_f32_e32 v51, v4, v8
	v_dual_add_f32 v4, v64, v16 :: v_dual_fmamk_f32 v67, v62, 0xbeae86e6, v76
	s_delay_alu instid0(VALU_DEP_4)
	v_add_f32_e32 v52, v5, v11
	v_fma_f32 v62, 0x3eae86e6, v62, -v79
	v_fmac_f32_e32 v22, 0xbee1c552, v71
	v_fma_f32 v21, 0x3f3bfb3b, v72, -v74
	v_fma_f32 v49, 0x3f3bfb3b, v73, -v75
	;; [unrolled: 1-line block ×4, first 2 shown]
	v_dual_fmac_f32 v67, 0xbee1c552, v20 :: v_dual_fmac_f32 v68, 0xbee1c552, v71
	v_dual_fmac_f32 v50, 0xbee1c552, v20 :: v_dual_fmac_f32 v69, 0xbee1c552, v71
	v_dual_fmac_f32 v62, 0xbee1c552, v20 :: v_dual_add_f32 v49, v49, v11
	v_dual_add_f32 v20, v7, v9 :: v_dual_add_f32 v23, v21, v8
	v_add_f32_e32 v70, v12, v8
	v_dual_sub_f32 v12, v14, v66 :: v_dual_add_f32 v71, v19, v11
	v_sub_f32_e32 v14, v16, v64
	v_sub_f32_e32 v8, v10, v65
	v_add_f32_e32 v10, v65, v10
	v_sub_f32_e32 v5, v17, v63
	v_sub_f32_e32 v7, v20, v18
	v_dual_add_f32 v9, v15, v13 :: v_dual_add_f32 v16, v68, v51
	v_sub_f32_e32 v11, v13, v15
	v_dual_add_f32 v13, v18, v20 :: v_dual_add_f32 v18, v69, v70
	v_add_f32_e32 v15, v63, v17
	v_sub_f32_e32 v17, v52, v67
	v_sub_f32_e32 v19, v71, v62
	v_dual_sub_f32 v20, v23, v22 :: v_dual_add_f32 v21, v50, v49
	v_dual_add_f32 v22, v22, v23 :: v_dual_sub_f32 v23, v49, v50
	v_add_f32_e32 v50, v62, v71
	v_sub_f32_e32 v49, v70, v69
	v_sub_f32_e32 v51, v51, v68
	v_add_f32_e32 v52, v67, v52
	ds_store_2addr_b64 v86, v[0:1], v[4:5] offset1:54
	ds_store_2addr_b64 v86, v[6:7], v[8:9] offset0:108 offset1:162
	ds_store_2addr_b64 v88, v[10:11], v[12:13] offset0:88 offset1:142
	ds_store_b64 v86, v[14:15] offset:2592
	ds_store_2addr_b64 v87, v[2:3], v[16:17] offset1:54
	ds_store_2addr_b64 v87, v[18:19], v[20:21] offset0:108 offset1:162
	ds_store_2addr_b64 v89, v[22:23], v[49:50] offset0:88 offset1:142
	ds_store_b64 v87, v[51:52] offset:2592
	s_and_saveexec_b32 s2, s1
	s_cbranch_execz .LBB0_19
; %bb.18:
	v_lshrrev_b16 v0, 1, v34
	s_delay_alu instid0(VALU_DEP_1) | instskip(NEXT) | instid1(VALU_DEP_1)
	v_and_b32_e32 v0, 0xffff, v0
	v_mul_u32_u24_e32 v0, 0x97b5, v0
	s_delay_alu instid0(VALU_DEP_1) | instskip(NEXT) | instid1(VALU_DEP_1)
	v_lshrrev_b32_e32 v0, 20, v0
	v_mul_lo_u16 v0, v0, 54
	s_delay_alu instid0(VALU_DEP_1) | instskip(NEXT) | instid1(VALU_DEP_1)
	v_sub_nc_u16 v0, v34, v0
	v_and_b32_e32 v12, 0xffff, v0
	s_delay_alu instid0(VALU_DEP_1) | instskip(NEXT) | instid1(VALU_DEP_1)
	v_mul_u32_u24_e32 v0, 6, v12
	v_lshlrev_b32_e32 v8, 3, v0
	s_clause 0x2
	global_load_b128 v[0:3], v8, s[4:5] offset:416
	global_load_b128 v[4:7], v8, s[4:5] offset:448
	;; [unrolled: 1-line block ×3, first 2 shown]
	s_waitcnt vmcnt(2)
	v_mul_f32_e32 v19, v40, v3
	s_waitcnt vmcnt(1)
	v_mul_f32_e32 v13, v48, v7
	;; [unrolled: 2-line block ×3, first 2 shown]
	v_lshl_add_u32 v14, v12, 3, 0
	v_dual_mul_f32 v18, v44, v9 :: v_dual_mul_f32 v11, v41, v11
	v_dual_mul_f32 v20, v46, v5 :: v_dual_mul_f32 v3, v39, v3
	s_delay_alu instid0(VALU_DEP_3) | instskip(SKIP_2) | instid1(VALU_DEP_4)
	v_dual_mul_f32 v12, v36, v1 :: v_dual_add_nc_u32 v15, 0x2c00, v14
	v_dual_mul_f32 v7, v47, v7 :: v_dual_add_nc_u32 v16, 0x3000, v14
	v_mul_f32_e32 v5, v45, v5
	v_dual_mul_f32 v1, v35, v1 :: v_dual_fmac_f32 v20, v45, v4
	s_delay_alu instid0(VALU_DEP_4) | instskip(SKIP_1) | instid1(VALU_DEP_4)
	v_fmac_f32_e32 v12, v35, v0
	v_fmac_f32_e32 v19, v39, v2
	v_fma_f32 v4, v46, v4, -v5
	v_fma_f32 v2, v40, v2, -v3
	v_fmac_f32_e32 v13, v47, v6
	v_fma_f32 v6, v48, v6, -v7
	v_fma_f32 v7, v42, v10, -v11
	v_mul_f32_e32 v9, v43, v9
	v_dual_fmac_f32 v17, v41, v10 :: v_dual_fmac_f32 v18, v43, v8
	v_fma_f32 v0, v36, v0, -v1
	v_add_f32_e32 v11, v2, v4
	s_delay_alu instid0(VALU_DEP_4) | instskip(SKIP_3) | instid1(VALU_DEP_4)
	v_fma_f32 v1, v44, v8, -v9
	v_dual_sub_f32 v2, v2, v4 :: v_dual_sub_f32 v3, v12, v13
	v_add_f32_e32 v12, v12, v13
	v_sub_f32_e32 v8, v19, v20
	v_add_f32_e32 v10, v1, v7
	v_sub_f32_e32 v5, v17, v18
	v_add_f32_e32 v13, v18, v17
	s_delay_alu instid0(VALU_DEP_3) | instskip(NEXT) | instid1(VALU_DEP_3)
	v_dual_sub_f32 v18, v10, v11 :: v_dual_add_f32 v9, v0, v6
	v_sub_f32_e32 v4, v3, v5
	v_sub_f32_e32 v0, v0, v6
	;; [unrolled: 1-line block ×3, first 2 shown]
	v_dual_add_f32 v17, v19, v20 :: v_dual_sub_f32 v20, v12, v13
	v_sub_f32_e32 v1, v7, v1
	v_dual_add_f32 v5, v5, v8 :: v_dual_sub_f32 v8, v8, v3
	s_delay_alu instid0(VALU_DEP_4) | instskip(NEXT) | instid1(VALU_DEP_4)
	v_dual_add_f32 v19, v11, v9 :: v_dual_mul_f32 v6, 0x3f08b237, v6
	v_add_f32_e32 v22, v17, v12
	s_delay_alu instid0(VALU_DEP_4) | instskip(SKIP_1) | instid1(VALU_DEP_4)
	v_sub_f32_e32 v35, v1, v2
	v_sub_f32_e32 v7, v9, v10
	v_dual_sub_f32 v21, v13, v17 :: v_dual_add_f32 v10, v10, v19
	v_sub_f32_e32 v23, v0, v1
	v_dual_add_f32 v1, v1, v2 :: v_dual_fmamk_f32 v36, v4, 0xbeae86e6, v6
	v_dual_sub_f32 v2, v2, v0 :: v_dual_add_f32 v13, v13, v22
	v_mul_f32_e32 v22, 0xbf5ff5aa, v8
	v_mul_f32_e32 v19, 0x3f08b237, v35
	v_sub_f32_e32 v9, v11, v9
	s_delay_alu instid0(VALU_DEP_4)
	v_mul_f32_e32 v35, 0xbf5ff5aa, v2
	v_fma_f32 v6, 0xbf5ff5aa, v8, -v6
	v_fma_f32 v22, 0x3eae86e6, v4, -v22
	;; [unrolled: 1-line block ×3, first 2 shown]
	v_add_f32_e32 v3, v5, v3
	v_mul_f32_e32 v5, 0x3f4a47b2, v7
	v_sub_f32_e32 v11, v17, v12
	v_mul_f32_e32 v12, 0x3f4a47b2, v20
	v_dual_add_f32 v20, v1, v0 :: v_dual_mul_f32 v7, 0x3d64c772, v18
	s_delay_alu instid0(VALU_DEP_1)
	v_fmac_f32_e32 v2, 0xbee1c552, v20
	v_fmac_f32_e32 v36, 0xbee1c552, v3
	v_dual_add_f32 v0, v37, v13 :: v_dual_add_f32 v1, v38, v10
	v_fmamk_f32 v37, v23, 0xbeae86e6, v19
	v_fma_f32 v23, 0x3eae86e6, v23, -v35
	v_fmamk_f32 v18, v18, 0x3d64c772, v5
	v_fma_f32 v4, 0xbf3bfb3b, v9, -v5
	v_fma_f32 v5, 0xbf3bfb3b, v11, -v12
	;; [unrolled: 1-line block ×3, first 2 shown]
	v_dual_fmac_f32 v23, 0xbee1c552, v20 :: v_dual_fmac_f32 v6, 0xbee1c552, v3
	v_dual_fmamk_f32 v9, v10, 0xbf955555, v1 :: v_dual_fmamk_f32 v10, v13, 0xbf955555, v0
	v_mul_f32_e32 v17, 0x3d64c772, v21
	v_fmamk_f32 v21, v21, 0x3d64c772, v12
	v_fmac_f32_e32 v22, 0xbee1c552, v3
	s_delay_alu instid0(VALU_DEP_4) | instskip(SKIP_2) | instid1(VALU_DEP_3)
	v_add_f32_e32 v12, v18, v9
	v_add_f32_e32 v18, v5, v10
	v_fma_f32 v8, 0x3f3bfb3b, v11, -v17
	v_add_f32_e32 v3, v36, v12
	v_sub_f32_e32 v13, v12, v36
	s_delay_alu instid0(VALU_DEP_3) | instskip(NEXT) | instid1(VALU_DEP_1)
	v_add_f32_e32 v19, v8, v10
	v_sub_f32_e32 v8, v19, v2
	v_add_f32_e32 v17, v21, v10
	v_dual_add_f32 v10, v23, v18 :: v_dual_add_f32 v11, v4, v9
	v_dual_add_f32 v9, v7, v9 :: v_dual_sub_f32 v4, v18, v23
	s_delay_alu instid0(VALU_DEP_2) | instskip(NEXT) | instid1(VALU_DEP_2)
	v_add_f32_e32 v5, v22, v11
	v_sub_f32_e32 v7, v9, v6
	v_add_f32_e32 v9, v6, v9
	v_dual_add_f32 v6, v2, v19 :: v_dual_fmac_f32 v37, 0xbee1c552, v20
	s_delay_alu instid0(VALU_DEP_1)
	v_dual_sub_f32 v11, v11, v22 :: v_dual_add_f32 v12, v37, v17
	v_sub_f32_e32 v2, v17, v37
	ds_store_2addr_b64 v15, v[0:1], v[12:13] offset0:104 offset1:158
	ds_store_2addr_b64 v16, v[10:11], v[8:9] offset0:84 offset1:138
	ds_store_2addr_b64 v16, v[6:7], v[4:5] offset0:192 offset1:246
	ds_store_b64 v14, v[2:3] offset:14688
.LBB0_19:
	s_or_b32 exec_lo, exec_lo, s2
	v_dual_mov_b32 v1, 0 :: v_dual_lshlrev_b32 v0, 2, v24
	s_waitcnt lgkmcnt(0)
	s_barrier
	buffer_gl0_inv
	s_add_u32 s2, s4, 0x3b00
	v_lshlrev_b64 v[2:3], 3, v[0:1]
	s_addc_u32 s3, s5, 0
	s_delay_alu instid0(VALU_DEP_1) | instskip(NEXT) | instid1(VALU_DEP_1)
	v_add_co_u32 v2, s1, s4, v2
	v_add_co_ci_u32_e64 v3, s1, s5, v3, s1
	s_clause 0x1
	global_load_b128 v[7:10], v[2:3], off offset:3008
	global_load_b128 v[11:14], v[2:3], off offset:3024
	v_lshlrev_b32_e32 v0, 2, v28
	s_delay_alu instid0(VALU_DEP_1) | instskip(SKIP_1) | instid1(VALU_DEP_2)
	v_lshlrev_b64 v[4:5], 3, v[0:1]
	v_lshlrev_b32_e32 v0, 2, v34
	v_add_co_u32 v2, s1, s4, v4
	s_delay_alu instid0(VALU_DEP_1) | instskip(NEXT) | instid1(VALU_DEP_3)
	v_add_co_ci_u32_e64 v3, s1, s5, v5, s1
	v_lshlrev_b64 v[4:5], 3, v[0:1]
	v_lshl_add_u32 v0, v30, 3, 0
	s_clause 0x1
	global_load_b128 v[15:18], v[2:3], off offset:3008
	global_load_b128 v[19:22], v[2:3], off offset:3024
	v_add_nc_u32_e32 v6, v57, v59
	v_add_co_u32 v2, s1, s4, v4
	s_delay_alu instid0(VALU_DEP_1)
	v_add_co_ci_u32_e64 v3, s1, s5, v5, s1
	s_clause 0x1
	global_load_b128 v[35:38], v[2:3], off offset:3008
	global_load_b128 v[39:42], v[2:3], off offset:3024
	v_add_nc_u32_e32 v5, v58, v60
	v_add_nc_u32_e32 v2, 0x1c00, v53
	;; [unrolled: 1-line block ×3, first 2 shown]
	s_mov_b32 s4, exec_lo
	ds_load_b64 v[51:52], v5
	v_add_nc_u32_e32 v3, 0x2c00, v53
	ds_load_b64 v[66:67], v0
	ds_load_2addr_b64 v[43:46], v2 offset0:112 offset1:238
	ds_load_b64 v[68:69], v53
	ds_load_2addr_b64 v[47:50], v3 offset0:104 offset1:230
	v_add_nc_u32_e32 v23, 0x13a0, v53
	s_waitcnt vmcnt(4) lgkmcnt(0)
	v_dual_mul_f32 v77, v14, v48 :: v_dual_add_nc_u32 v4, 0xc00, v53
	s_delay_alu instid0(VALU_DEP_1)
	v_fmac_f32_e32 v77, v13, v47
	ds_load_b64 v[2:3], v61
	ds_load_b64 v[70:71], v6
	ds_load_2addr_b32 v[72:73], v4 offset0:240 offset1:241
	ds_load_2addr_b64 v[57:60], v23 offset0:2 offset1:254
	ds_load_2addr_b64 v[62:65], v62 offset0:108 offset1:234
	ds_load_b64 v[74:75], v53 offset:14112
	v_mul_f32_e32 v4, v8, v52
	v_mul_f32_e32 v8, v8, v51
	;; [unrolled: 1-line block ×5, first 2 shown]
	v_fmac_f32_e32 v4, v7, v51
	v_fma_f32 v7, v7, v52, -v8
	v_fmac_f32_e32 v23, v9, v66
	v_fma_f32 v8, v9, v67, -v10
	s_waitcnt vmcnt(0) lgkmcnt(0)
	s_barrier
	buffer_gl0_inv
	v_dual_mul_f32 v9, v73, v16 :: v_dual_mul_f32 v76, v12, v46
	s_delay_alu instid0(VALU_DEP_1) | instskip(NEXT) | instid1(VALU_DEP_2)
	v_dual_mul_f32 v12, v12, v45 :: v_dual_fmac_f32 v9, v15, v72
	v_fmac_f32_e32 v76, v11, v45
	s_delay_alu instid0(VALU_DEP_2) | instskip(SKIP_4) | instid1(VALU_DEP_4)
	v_fma_f32 v10, v11, v46, -v12
	v_dual_mul_f32 v11, v16, v72 :: v_dual_mul_f32 v46, v50, v22
	v_mul_f32_e32 v16, v49, v22
	v_fma_f32 v45, v13, v48, -v14
	v_dual_mul_f32 v13, v60, v18 :: v_dual_mul_f32 v14, v62, v20
	v_fmac_f32_e32 v46, v49, v21
	s_delay_alu instid0(VALU_DEP_4)
	v_fma_f32 v47, v50, v21, -v16
	v_mul_f32_e32 v21, v44, v38
	v_dual_mul_f32 v12, v59, v18 :: v_dual_sub_f32 v49, v4, v23
	v_dual_mul_f32 v18, v63, v20 :: v_dual_add_f32 v51, v4, v77
	v_fma_f32 v11, v73, v15, -v11
	v_fmac_f32_e32 v13, v59, v17
	s_delay_alu instid0(VALU_DEP_4) | instskip(NEXT) | instid1(VALU_DEP_4)
	v_fma_f32 v15, v60, v17, -v12
	v_dual_fmac_f32 v18, v62, v19 :: v_dual_sub_f32 v67, v45, v10
	v_fma_f32 v20, v63, v19, -v14
	v_dual_mul_f32 v17, v64, v40 :: v_dual_mul_f32 v48, v75, v42
	v_mul_f32_e32 v19, v74, v42
	v_sub_f32_e32 v42, v8, v10
	v_sub_f32_e32 v66, v7, v8
	v_add_f32_e32 v72, v7, v45
	v_mul_f32_e32 v14, v43, v38
	v_mul_f32_e32 v38, v65, v40
	v_dual_mul_f32 v16, v58, v36 :: v_dual_fmac_f32 v21, v43, v37
	v_mul_f32_e32 v12, v57, v36
	v_dual_sub_f32 v40, v7, v45 :: v_dual_sub_f32 v73, v8, v7
	v_sub_f32_e32 v50, v77, v76
	v_add_f32_e32 v22, v68, v4
	v_sub_f32_e32 v78, v10, v45
	v_fma_f32 v37, v44, v37, -v14
	v_fma_f32 v43, v65, v39, -v17
	;; [unrolled: 1-line block ×3, first 2 shown]
	v_dual_add_f32 v17, v70, v9 :: v_dual_fmac_f32 v38, v64, v39
	v_add_f32_e32 v39, v66, v67
	v_add_f32_e32 v19, v13, v18
	;; [unrolled: 1-line block ×5, first 2 shown]
	v_dual_sub_f32 v52, v23, v4 :: v_dual_sub_f32 v59, v76, v77
	v_add_f32_e32 v62, v8, v10
	v_dual_sub_f32 v4, v4, v77 :: v_dual_sub_f32 v65, v11, v15
	v_sub_f32_e32 v63, v23, v76
	v_add_f32_e32 v14, v60, v8
	v_fmac_f32_e32 v16, v57, v35
	v_fma_f32 v35, v58, v35, -v12
	v_sub_f32_e32 v57, v13, v9
	v_dual_fmac_f32 v48, v74, v41 :: v_dual_add_f32 v41, v73, v78
	v_fma_f32 v7, -0.5, v36, v68
	v_fma_f32 v68, -0.5, v51, v68
	v_dual_sub_f32 v51, v46, v18 :: v_dual_sub_f32 v66, v47, v20
	v_add_f32_e32 v12, v22, v23
	v_sub_f32_e32 v22, v9, v13
	v_dual_add_f32 v60, v15, v20 :: v_dual_sub_f32 v73, v20, v47
	v_add_f32_e32 v23, v49, v50
	v_sub_f32_e32 v49, v11, v47
	s_delay_alu instid0(VALU_DEP_4)
	v_add_f32_e32 v51, v22, v51
	v_dual_add_f32 v75, v14, v10 :: v_dual_add_f32 v36, v52, v59
	v_dual_add_f32 v52, v9, v46 :: v_dual_add_f32 v59, v71, v11
	v_fma_f32 v8, -0.5, v62, v69
	v_dual_sub_f32 v62, v9, v46 :: v_dual_add_f32 v79, v3, v35
	v_fmamk_f32 v9, v40, 0xbf737871, v7
	v_fmac_f32_e32 v7, 0x3f737871, v40
	v_fmac_f32_e32 v69, -0.5, v72
	v_sub_f32_e32 v50, v15, v20
	v_sub_f32_e32 v58, v18, v46
	v_dual_sub_f32 v72, v15, v11 :: v_dual_fmac_f32 v9, 0xbf167918, v42
	v_fmamk_f32 v11, v42, 0x3f737871, v68
	v_dual_fmac_f32 v68, 0xbf737871, v42 :: v_dual_add_f32 v85, v35, v44
	v_dual_add_f32 v22, v59, v15 :: v_dual_fmac_f32 v7, 0x3f167918, v42
	v_fma_f32 v14, -0.5, v60, v71
	v_fmac_f32_e32 v71, -0.5, v67
	v_dual_sub_f32 v67, v16, v21 :: v_dual_add_f32 v80, v37, v43
	v_sub_f32_e32 v64, v13, v18
	v_add_f32_e32 v17, v17, v13
	v_fma_f32 v13, -0.5, v19, v70
	v_fma_f32 v70, -0.5, v52, v70
	v_dual_add_f32 v52, v57, v58 :: v_dual_fmac_f32 v11, 0xbf167918, v40
	v_dual_add_f32 v57, v65, v66 :: v_dual_add_f32 v74, v12, v76
	v_sub_f32_e32 v83, v35, v37
	v_dual_add_f32 v59, v2, v16 :: v_dual_add_f32 v60, v21, v38
	v_fmamk_f32 v19, v50, 0x3f737871, v70
	v_sub_f32_e32 v65, v35, v44
	v_sub_f32_e32 v76, v21, v16
	v_dual_sub_f32 v35, v37, v35 :: v_dual_sub_f32 v86, v43, v44
	v_fmac_f32_e32 v7, 0x3e9e377a, v23
	v_fmac_f32_e32 v68, 0x3f167918, v40
	v_add_f32_e32 v40, v22, v20
	v_fma_f32 v22, -0.5, v80, v3
	v_fmac_f32_e32 v3, -0.5, v85
	v_fmamk_f32 v12, v63, 0xbf737871, v69
	v_dual_fmac_f32 v69, 0x3f737871, v63 :: v_dual_sub_f32 v78, v38, v48
	v_fmamk_f32 v10, v4, 0x3f737871, v8
	v_fmac_f32_e32 v8, 0xbf737871, v4
	s_delay_alu instid0(VALU_DEP_3)
	v_dual_add_f32 v58, v72, v73 :: v_dual_fmac_f32 v69, 0xbf167918, v4
	v_add_f32_e32 v73, v16, v48
	v_dual_sub_f32 v81, v16, v48 :: v_dual_sub_f32 v66, v37, v43
	v_dual_sub_f32 v82, v21, v38 :: v_dual_fmac_f32 v9, 0x3e9e377a, v23
	v_dual_sub_f32 v84, v44, v43 :: v_dual_fmac_f32 v11, 0x3e9e377a, v36
	v_sub_f32_e32 v72, v48, v38
	v_fmamk_f32 v20, v64, 0xbf737871, v71
	v_dual_fmac_f32 v71, 0x3f737871, v64 :: v_dual_add_f32 v42, v59, v21
	v_fma_f32 v21, -0.5, v60, v2
	v_dual_add_f32 v59, v76, v78 :: v_dual_add_f32 v60, v79, v37
	v_fmac_f32_e32 v12, 0x3f167918, v4
	v_dual_add_f32 v4, v17, v18 :: v_dual_fmac_f32 v69, 0x3e9e377a, v41
	v_dual_fmamk_f32 v17, v49, 0xbf737871, v13 :: v_dual_add_f32 v16, v75, v45
	v_dual_fmac_f32 v8, 0xbf167918, v63 :: v_dual_fmac_f32 v19, 0xbf167918, v49
	v_fmac_f32_e32 v13, 0x3f737871, v49
	v_fmac_f32_e32 v10, 0x3f167918, v63
	v_dual_fmac_f32 v70, 0xbf737871, v50 :: v_dual_fmamk_f32 v37, v65, 0xbf737871, v21
	v_fma_f32 v2, -0.5, v73, v2
	v_add_f32_e32 v63, v83, v84
	v_add_f32_e32 v45, v67, v72
	;; [unrolled: 1-line block ×4, first 2 shown]
	v_fmac_f32_e32 v17, 0xbf167918, v50
	v_fmac_f32_e32 v68, 0x3e9e377a, v36
	v_dual_fmac_f32 v71, 0xbf167918, v62 :: v_dual_add_f32 v36, v40, v47
	v_fmac_f32_e32 v37, 0xbf167918, v66
	v_fmamk_f32 v40, v82, 0xbf737871, v3
	v_dual_fmac_f32 v3, 0x3f737871, v82 :: v_dual_fmamk_f32 v18, v62, 0x3f737871, v14
	v_fmac_f32_e32 v21, 0x3f737871, v65
	v_dual_fmac_f32 v8, 0x3e9e377a, v39 :: v_dual_fmac_f32 v71, 0x3e9e377a, v58
	v_fmac_f32_e32 v13, 0x3f167918, v50
	v_dual_fmac_f32 v10, 0x3e9e377a, v39 :: v_dual_fmac_f32 v19, 0x3e9e377a, v52
	v_fmamk_f32 v39, v66, 0x3f737871, v2
	v_dual_add_f32 v4, v42, v38 :: v_dual_fmac_f32 v3, 0xbf167918, v81
	v_fmac_f32_e32 v14, 0xbf737871, v62
	v_fmac_f32_e32 v2, 0xbf737871, v66
	v_fmamk_f32 v38, v81, 0x3f737871, v22
	v_fmac_f32_e32 v22, 0xbf737871, v81
	v_fmac_f32_e32 v18, 0x3f167918, v64
	;; [unrolled: 1-line block ×3, first 2 shown]
	v_dual_fmac_f32 v70, 0x3f167918, v49 :: v_dual_fmac_f32 v21, 0x3f167918, v66
	v_dual_add_f32 v23, v60, v43 :: v_dual_fmac_f32 v12, 0x3e9e377a, v41
	v_fmac_f32_e32 v13, 0x3e9e377a, v51
	v_add_f32_e32 v41, v4, v48
	v_dual_fmac_f32 v14, 0xbf167918, v64 :: v_dual_fmac_f32 v39, 0xbf167918, v65
	v_add_f32_e32 v15, v74, v77
	v_fmac_f32_e32 v2, 0x3f167918, v65
	v_fmac_f32_e32 v38, 0x3f167918, v82
	;; [unrolled: 1-line block ×4, first 2 shown]
	v_dual_fmac_f32 v17, 0x3e9e377a, v51 :: v_dual_fmac_f32 v18, 0x3e9e377a, v57
	v_dual_fmac_f32 v39, 0x3e9e377a, v59 :: v_dual_fmac_f32 v20, 0x3e9e377a, v58
	;; [unrolled: 1-line block ×3, first 2 shown]
	v_fmac_f32_e32 v37, 0x3e9e377a, v45
	v_dual_fmac_f32 v14, 0x3e9e377a, v57 :: v_dual_fmac_f32 v3, 0x3e9e377a, v67
	v_add_f32_e32 v42, v23, v44
	ds_store_b64 v53, v[15:16]
	ds_store_b64 v53, v[9:10] offset:3024
	ds_store_b64 v53, v[11:12] offset:6048
	;; [unrolled: 1-line block ×4, first 2 shown]
	v_fmac_f32_e32 v2, 0x3e9e377a, v59
	v_fmac_f32_e32 v38, 0x3e9e377a, v63
	;; [unrolled: 1-line block ×4, first 2 shown]
	ds_store_b64 v6, v[35:36]
	ds_store_b64 v6, v[17:18] offset:3024
	ds_store_b64 v6, v[19:20] offset:6048
	;; [unrolled: 1-line block ×4, first 2 shown]
	ds_store_b64 v61, v[41:42]
	ds_store_b64 v61, v[37:38] offset:3024
	ds_store_b64 v61, v[39:40] offset:6048
	;; [unrolled: 1-line block ×4, first 2 shown]
	s_waitcnt lgkmcnt(0)
	s_barrier
	buffer_gl0_inv
	ds_load_b64 v[3:4], v53
	v_sub_nc_u32_e32 v7, 0, v25
                                        ; implicit-def: $vgpr2
                                        ; implicit-def: $vgpr10
	v_cmpx_ne_u32_e32 0, v24
	s_xor_b32 s4, exec_lo, s4
	s_cbranch_execz .LBB0_21
; %bb.20:
	v_mov_b32_e32 v25, v1
	s_delay_alu instid0(VALU_DEP_1) | instskip(NEXT) | instid1(VALU_DEP_1)
	v_lshlrev_b64 v[1:2], 3, v[24:25]
	v_add_co_u32 v1, s1, s2, v1
	s_delay_alu instid0(VALU_DEP_1)
	v_add_co_ci_u32_e64 v2, s1, s3, v2, s1
	global_load_b64 v[8:9], v[1:2], off
	ds_load_b64 v[1:2], v7 offset:15120
	s_waitcnt lgkmcnt(0)
	v_dual_sub_f32 v10, v3, v1 :: v_dual_add_f32 v11, v2, v4
	v_dual_sub_f32 v2, v4, v2 :: v_dual_add_f32 v1, v1, v3
	s_delay_alu instid0(VALU_DEP_2) | instskip(NEXT) | instid1(VALU_DEP_2)
	v_dual_mul_f32 v4, 0.5, v10 :: v_dual_mul_f32 v3, 0.5, v11
	v_mul_f32_e32 v2, 0.5, v2
	s_waitcnt vmcnt(0)
	s_delay_alu instid0(VALU_DEP_2) | instskip(NEXT) | instid1(VALU_DEP_2)
	v_mul_f32_e32 v10, v9, v4
	v_fma_f32 v11, v3, v9, v2
	v_fma_f32 v2, v3, v9, -v2
	s_delay_alu instid0(VALU_DEP_3) | instskip(SKIP_1) | instid1(VALU_DEP_4)
	v_fma_f32 v12, 0.5, v1, v10
	v_fma_f32 v1, v1, 0.5, -v10
	v_fma_f32 v10, -v8, v4, v11
	s_delay_alu instid0(VALU_DEP_4) | instskip(NEXT) | instid1(VALU_DEP_4)
	v_fma_f32 v2, -v8, v4, v2
	v_fmac_f32_e32 v12, v8, v3
	s_delay_alu instid0(VALU_DEP_4)
	v_fma_f32 v1, -v8, v3, v1
                                        ; implicit-def: $vgpr3_vgpr4
	ds_store_b32 v53, v12
.LBB0_21:
	s_or_saveexec_b32 s1, s4
	v_sub_nc_u32_e32 v8, 0, v29
	v_sub_nc_u32_e32 v9, 0, v56
	s_xor_b32 exec_lo, exec_lo, s1
	s_cbranch_execz .LBB0_23
; %bb.22:
	s_waitcnt lgkmcnt(0)
	v_dual_mov_b32 v10, 0 :: v_dual_add_f32 v11, v3, v4
	v_sub_f32_e32 v1, v3, v4
	ds_load_b32 v2, v10 offset:7564
	s_waitcnt lgkmcnt(0)
	v_xor_b32_e32 v3, 0x80000000, v2
	v_mov_b32_e32 v2, v10
	ds_store_b32 v53, v11
	ds_store_b32 v10, v3 offset:7564
.LBB0_23:
	s_or_b32 exec_lo, exec_lo, s1
	v_mov_b32_e32 v29, 0
	s_waitcnt lgkmcnt(0)
	s_delay_alu instid0(VALU_DEP_1) | instskip(SKIP_1) | instid1(VALU_DEP_1)
	v_lshlrev_b64 v[3:4], 3, v[28:29]
	v_mov_b32_e32 v35, v29
	v_lshlrev_b64 v[11:12], 3, v[34:35]
	s_delay_alu instid0(VALU_DEP_3) | instskip(NEXT) | instid1(VALU_DEP_1)
	v_add_co_u32 v3, s1, s2, v3
	v_add_co_ci_u32_e64 v4, s1, s3, v4, s1
	v_mov_b32_e32 v34, v29
	s_delay_alu instid0(VALU_DEP_4)
	v_add_co_u32 v11, s1, s2, v11
	global_load_b64 v[3:4], v[3:4], off
	v_add_co_ci_u32_e64 v12, s1, s3, v12, s1
	v_lshlrev_b64 v[13:14], 3, v[33:34]
	v_mov_b32_e32 v33, v29
	global_load_b64 v[11:12], v[11:12], off
	v_add_co_u32 v13, s1, s2, v13
	s_delay_alu instid0(VALU_DEP_1) | instskip(SKIP_3) | instid1(VALU_DEP_1)
	v_add_co_ci_u32_e64 v14, s1, s3, v14, s1
	v_lshlrev_b64 v[15:16], 3, v[32:33]
	global_load_b64 v[13:14], v[13:14], off
	v_add_co_u32 v15, s1, s2, v15
	v_add_co_ci_u32_e64 v16, s1, s3, v16, s1
	global_load_b64 v[15:16], v[15:16], off
	v_mov_b32_e32 v32, v29
	s_delay_alu instid0(VALU_DEP_1) | instskip(SKIP_1) | instid1(VALU_DEP_2)
	v_lshlrev_b64 v[17:18], 3, v[31:32]
	v_mov_b32_e32 v31, v29
	v_add_co_u32 v17, s1, s2, v17
	s_delay_alu instid0(VALU_DEP_1) | instskip(NEXT) | instid1(VALU_DEP_3)
	v_add_co_ci_u32_e64 v18, s1, s3, v18, s1
	v_lshlrev_b64 v[19:20], 3, v[30:31]
	global_load_b64 v[17:18], v[17:18], off
	v_add_co_u32 v19, s1, s2, v19
	s_delay_alu instid0(VALU_DEP_1)
	v_add_co_ci_u32_e64 v20, s1, s3, v20, s1
	global_load_b64 v[19:20], v[19:20], off
	ds_store_b32 v53, v10 offset:4
	ds_store_b64 v7, v[1:2] offset:15120
	ds_load_b64 v[1:2], v6
	ds_load_b64 v[21:22], v7 offset:14112
	s_waitcnt lgkmcnt(0)
	v_dual_sub_f32 v10, v1, v21 :: v_dual_add_f32 v23, v2, v22
	v_dual_sub_f32 v2, v2, v22 :: v_dual_add_f32 v21, v1, v21
	s_delay_alu instid0(VALU_DEP_2) | instskip(NEXT) | instid1(VALU_DEP_3)
	v_mul_f32_e32 v10, 0.5, v10
	v_mul_f32_e32 v22, 0.5, v23
	s_delay_alu instid0(VALU_DEP_3) | instskip(SKIP_1) | instid1(VALU_DEP_3)
	v_mul_f32_e32 v2, 0.5, v2
	s_waitcnt vmcnt(5)
	v_mul_f32_e32 v23, v4, v10
	s_delay_alu instid0(VALU_DEP_2) | instskip(SKIP_1) | instid1(VALU_DEP_3)
	v_fma_f32 v25, v22, v4, v2
	v_fma_f32 v4, v22, v4, -v2
	v_fma_f32 v1, 0.5, v21, v23
	v_fma_f32 v21, v21, 0.5, -v23
	s_delay_alu instid0(VALU_DEP_4) | instskip(NEXT) | instid1(VALU_DEP_4)
	v_fma_f32 v2, -v3, v10, v25
	v_fma_f32 v4, -v3, v10, v4
	s_delay_alu instid0(VALU_DEP_4) | instskip(NEXT) | instid1(VALU_DEP_4)
	v_fmac_f32_e32 v1, v3, v22
	v_fma_f32 v3, -v3, v22, v21
	ds_store_b64 v6, v[1:2]
	ds_store_b64 v7, v[3:4] offset:14112
	ds_load_b64 v[1:2], v61
	ds_load_b64 v[3:4], v7 offset:13104
	s_waitcnt lgkmcnt(0)
	v_add_f32_e32 v10, v2, v4
	v_sub_f32_e32 v6, v1, v3
	v_dual_sub_f32 v2, v2, v4 :: v_dual_add_f32 v3, v1, v3
	s_delay_alu instid0(VALU_DEP_2) | instskip(NEXT) | instid1(VALU_DEP_4)
	v_mul_f32_e32 v4, 0.5, v6
	v_mul_f32_e32 v6, 0.5, v10
	s_delay_alu instid0(VALU_DEP_3) | instskip(SKIP_1) | instid1(VALU_DEP_3)
	v_mul_f32_e32 v2, 0.5, v2
	s_waitcnt vmcnt(4)
	v_mul_f32_e32 v10, v12, v4
	s_delay_alu instid0(VALU_DEP_2) | instskip(SKIP_1) | instid1(VALU_DEP_3)
	v_fma_f32 v21, v6, v12, v2
	v_fma_f32 v12, v6, v12, -v2
	v_fma_f32 v1, 0.5, v3, v10
	s_delay_alu instid0(VALU_DEP_3) | instskip(NEXT) | instid1(VALU_DEP_3)
	v_fma_f32 v2, -v11, v4, v21
	v_fma_f32 v4, -v11, v4, v12
	s_delay_alu instid0(VALU_DEP_3) | instskip(SKIP_1) | instid1(VALU_DEP_1)
	v_fmac_f32_e32 v1, v11, v6
	v_fma_f32 v3, v3, 0.5, -v10
	v_fma_f32 v3, -v11, v6, v3
	ds_store_b64 v61, v[1:2]
	ds_store_b64 v7, v[3:4] offset:13104
	ds_load_b64 v[1:2], v5
	ds_load_b64 v[3:4], v7 offset:12096
	s_waitcnt lgkmcnt(0)
	v_sub_f32_e32 v6, v1, v3
	v_add_f32_e32 v10, v2, v4
	v_dual_sub_f32 v2, v2, v4 :: v_dual_add_f32 v3, v1, v3
	s_delay_alu instid0(VALU_DEP_3) | instskip(NEXT) | instid1(VALU_DEP_3)
	v_mul_f32_e32 v4, 0.5, v6
	v_mul_f32_e32 v6, 0.5, v10
	s_delay_alu instid0(VALU_DEP_3) | instskip(SKIP_1) | instid1(VALU_DEP_3)
	v_mul_f32_e32 v2, 0.5, v2
	s_waitcnt vmcnt(3)
	v_mul_f32_e32 v10, v14, v4
	s_delay_alu instid0(VALU_DEP_2) | instskip(SKIP_1) | instid1(VALU_DEP_3)
	v_fma_f32 v11, v6, v14, v2
	v_fma_f32 v12, v6, v14, -v2
	v_fma_f32 v1, 0.5, v3, v10
	v_fma_f32 v3, v3, 0.5, -v10
	s_delay_alu instid0(VALU_DEP_4) | instskip(NEXT) | instid1(VALU_DEP_4)
	v_fma_f32 v2, -v13, v4, v11
	v_fma_f32 v4, -v13, v4, v12
	s_delay_alu instid0(VALU_DEP_4) | instskip(NEXT) | instid1(VALU_DEP_4)
	v_fmac_f32_e32 v1, v13, v6
	v_fma_f32 v3, -v13, v6, v3
	v_add_nc_u32_e32 v6, v55, v9
	ds_store_b64 v5, v[1:2]
	ds_store_b64 v7, v[3:4] offset:12096
	ds_load_b64 v[1:2], v6
	ds_load_b64 v[3:4], v7 offset:11088
	s_waitcnt lgkmcnt(0)
	v_sub_f32_e32 v5, v1, v3
	v_add_f32_e32 v9, v2, v4
	v_dual_sub_f32 v2, v2, v4 :: v_dual_add_f32 v3, v1, v3
	s_delay_alu instid0(VALU_DEP_3) | instskip(NEXT) | instid1(VALU_DEP_2)
	v_mul_f32_e32 v4, 0.5, v5
	v_dual_mul_f32 v5, 0.5, v9 :: v_dual_mul_f32 v2, 0.5, v2
	s_waitcnt vmcnt(2)
	s_delay_alu instid0(VALU_DEP_2) | instskip(NEXT) | instid1(VALU_DEP_2)
	v_mul_f32_e32 v9, v16, v4
	v_fma_f32 v10, v5, v16, v2
	v_fma_f32 v11, v5, v16, -v2
	s_delay_alu instid0(VALU_DEP_3) | instskip(SKIP_1) | instid1(VALU_DEP_4)
	v_fma_f32 v1, 0.5, v3, v9
	v_fma_f32 v3, v3, 0.5, -v9
	v_fma_f32 v2, -v15, v4, v10
	s_delay_alu instid0(VALU_DEP_4) | instskip(NEXT) | instid1(VALU_DEP_4)
	v_fma_f32 v4, -v15, v4, v11
	v_fmac_f32_e32 v1, v15, v5
	s_delay_alu instid0(VALU_DEP_4)
	v_fma_f32 v3, -v15, v5, v3
	v_add_nc_u32_e32 v5, v54, v8
	ds_store_b64 v6, v[1:2]
	ds_store_b64 v7, v[3:4] offset:11088
	ds_load_b64 v[1:2], v5
	ds_load_b64 v[3:4], v7 offset:10080
	s_waitcnt lgkmcnt(0)
	v_sub_f32_e32 v6, v1, v3
	v_add_f32_e32 v8, v2, v4
	v_dual_sub_f32 v2, v2, v4 :: v_dual_add_f32 v3, v1, v3
	s_delay_alu instid0(VALU_DEP_3) | instskip(NEXT) | instid1(VALU_DEP_3)
	v_mul_f32_e32 v4, 0.5, v6
	v_mul_f32_e32 v6, 0.5, v8
	s_delay_alu instid0(VALU_DEP_3) | instskip(SKIP_1) | instid1(VALU_DEP_3)
	v_mul_f32_e32 v2, 0.5, v2
	s_waitcnt vmcnt(1)
	v_mul_f32_e32 v8, v18, v4
	s_delay_alu instid0(VALU_DEP_2) | instskip(SKIP_1) | instid1(VALU_DEP_3)
	v_fma_f32 v9, v6, v18, v2
	v_fma_f32 v10, v6, v18, -v2
	v_fma_f32 v1, 0.5, v3, v8
	v_fma_f32 v3, v3, 0.5, -v8
	s_delay_alu instid0(VALU_DEP_4) | instskip(NEXT) | instid1(VALU_DEP_4)
	v_fma_f32 v2, -v17, v4, v9
	v_fma_f32 v4, -v17, v4, v10
	s_delay_alu instid0(VALU_DEP_4) | instskip(NEXT) | instid1(VALU_DEP_4)
	v_fmac_f32_e32 v1, v17, v6
	v_fma_f32 v3, -v17, v6, v3
	ds_store_b64 v5, v[1:2]
	ds_store_b64 v7, v[3:4] offset:10080
	ds_load_b64 v[1:2], v0
	ds_load_b64 v[3:4], v7 offset:9072
	s_waitcnt lgkmcnt(0)
	v_dual_sub_f32 v5, v1, v3 :: v_dual_add_f32 v6, v2, v4
	v_dual_sub_f32 v2, v2, v4 :: v_dual_add_f32 v3, v1, v3
	s_delay_alu instid0(VALU_DEP_2) | instskip(NEXT) | instid1(VALU_DEP_2)
	v_dual_mul_f32 v4, 0.5, v5 :: v_dual_mul_f32 v5, 0.5, v6
	v_mul_f32_e32 v2, 0.5, v2
	s_waitcnt vmcnt(0)
	s_delay_alu instid0(VALU_DEP_2) | instskip(NEXT) | instid1(VALU_DEP_2)
	v_mul_f32_e32 v6, v20, v4
	v_fma_f32 v8, v5, v20, v2
	v_fma_f32 v9, v5, v20, -v2
	s_delay_alu instid0(VALU_DEP_3) | instskip(SKIP_1) | instid1(VALU_DEP_4)
	v_fma_f32 v1, 0.5, v3, v6
	v_fma_f32 v3, v3, 0.5, -v6
	v_fma_f32 v2, -v19, v4, v8
	s_delay_alu instid0(VALU_DEP_4) | instskip(NEXT) | instid1(VALU_DEP_4)
	v_fma_f32 v4, -v19, v4, v9
	v_fmac_f32_e32 v1, v19, v5
	s_delay_alu instid0(VALU_DEP_4)
	v_fma_f32 v3, -v19, v5, v3
	ds_store_b64 v0, v[1:2]
	ds_store_b64 v7, v[3:4] offset:9072
	s_and_saveexec_b32 s1, s0
	s_cbranch_execz .LBB0_25
; %bb.24:
	v_add_nc_u32_e32 v28, 0x372, v24
	s_delay_alu instid0(VALU_DEP_1) | instskip(NEXT) | instid1(VALU_DEP_1)
	v_lshlrev_b64 v[0:1], 3, v[28:29]
	v_add_co_u32 v0, s0, s2, v0
	s_delay_alu instid0(VALU_DEP_1)
	v_add_co_ci_u32_e64 v1, s0, s3, v1, s0
	global_load_b64 v[0:1], v[0:1], off
	ds_load_b64 v[2:3], v53 offset:7056
	ds_load_b64 v[4:5], v7 offset:8064
	s_waitcnt lgkmcnt(0)
	v_add_f32_e32 v8, v3, v5
	v_dual_sub_f32 v3, v3, v5 :: v_dual_sub_f32 v6, v2, v4
	s_delay_alu instid0(VALU_DEP_1) | instskip(NEXT) | instid1(VALU_DEP_2)
	v_mul_f32_e32 v3, 0.5, v3
	v_dual_mul_f32 v5, 0.5, v6 :: v_dual_mul_f32 v6, 0.5, v8
	v_add_f32_e32 v2, v2, v4
	s_waitcnt vmcnt(0)
	s_delay_alu instid0(VALU_DEP_2) | instskip(NEXT) | instid1(VALU_DEP_3)
	v_mul_f32_e32 v4, v1, v5
	v_fma_f32 v8, v6, v1, v3
	v_fma_f32 v3, v6, v1, -v3
	s_delay_alu instid0(VALU_DEP_3) | instskip(NEXT) | instid1(VALU_DEP_1)
	v_fma_f32 v1, 0.5, v2, v4
	v_fmac_f32_e32 v1, v0, v6
	v_fma_f32 v9, v2, 0.5, -v4
	v_fma_f32 v2, -v0, v5, v8
	v_fma_f32 v4, -v0, v5, v3
	s_delay_alu instid0(VALU_DEP_3)
	v_fma_f32 v3, -v0, v6, v9
	ds_store_b64 v53, v[1:2] offset:7056
	ds_store_b64 v7, v[3:4] offset:8064
.LBB0_25:
	s_or_b32 exec_lo, exec_lo, s1
	s_waitcnt lgkmcnt(0)
	s_barrier
	buffer_gl0_inv
	s_and_saveexec_b32 s0, vcc_lo
	s_cbranch_execz .LBB0_28
; %bb.26:
	v_dual_mov_b32 v25, 0 :: v_dual_add_nc_u32 v0, 0x400, v53
	ds_load_2addr_b64 v[2:5], v53 offset1:126
	v_add_nc_u32_e32 v10, 0xc00, v53
	v_add_nc_u32_e32 v14, 0x1400, v53
	v_lshlrev_b64 v[18:19], 3, v[24:25]
	ds_load_2addr_b64 v[6:9], v0 offset0:124 offset1:250
	v_add_co_u32 v0, vcc_lo, s8, v26
	v_add_co_ci_u32_e32 v1, vcc_lo, s9, v27, vcc_lo
	v_add_nc_u32_e32 v26, 0x2400, v53
	s_delay_alu instid0(VALU_DEP_3)
	v_add_co_u32 v22, vcc_lo, v0, v18
	v_add_nc_u32_e32 v18, 0x1c00, v53
	v_add_nc_u32_e32 v30, 0x2c00, v53
	ds_load_2addr_b64 v[10:13], v10 offset0:120 offset1:246
	ds_load_2addr_b64 v[14:17], v14 offset0:116 offset1:242
	v_add_co_ci_u32_e32 v23, vcc_lo, v1, v19, vcc_lo
	ds_load_2addr_b64 v[18:21], v18 offset0:112 offset1:238
	ds_load_2addr_b64 v[26:29], v26 offset0:108 offset1:234
	;; [unrolled: 1-line block ×3, first 2 shown]
	v_add_co_u32 v34, vcc_lo, 0x1000, v22
	v_add_co_ci_u32_e32 v35, vcc_lo, 0, v23, vcc_lo
	s_waitcnt lgkmcnt(6)
	s_clause 0x1
	global_store_b64 v[22:23], v[2:3], off
	global_store_b64 v[22:23], v[4:5], off offset:1008
	s_waitcnt lgkmcnt(5)
	s_clause 0x1
	global_store_b64 v[22:23], v[6:7], off offset:2016
	global_store_b64 v[22:23], v[8:9], off offset:3024
	ds_load_b64 v[2:3], v53 offset:14112
	v_add_co_u32 v4, vcc_lo, 0x2000, v22
	v_add_co_ci_u32_e32 v5, vcc_lo, 0, v23, vcc_lo
	v_add_co_u32 v6, vcc_lo, 0x3000, v22
	v_add_co_ci_u32_e32 v7, vcc_lo, 0, v23, vcc_lo
	v_cmp_eq_u32_e32 vcc_lo, 0x7d, v24
	s_waitcnt lgkmcnt(5)
	s_clause 0x1
	global_store_b64 v[22:23], v[10:11], off offset:4032
	global_store_b64 v[34:35], v[12:13], off offset:944
	s_waitcnt lgkmcnt(4)
	s_clause 0x1
	global_store_b64 v[34:35], v[14:15], off offset:1952
	global_store_b64 v[34:35], v[16:17], off offset:2960
	;; [unrolled: 4-line block ×5, first 2 shown]
	s_waitcnt lgkmcnt(0)
	global_store_b64 v[6:7], v[2:3], off offset:1824
	s_and_b32 exec_lo, exec_lo, vcc_lo
	s_cbranch_execz .LBB0_28
; %bb.27:
	ds_load_b64 v[2:3], v25 offset:15120
	v_add_co_u32 v0, vcc_lo, 0x3000, v0
	v_add_co_ci_u32_e32 v1, vcc_lo, 0, v1, vcc_lo
	s_waitcnt lgkmcnt(0)
	global_store_b64 v[0:1], v[2:3], off offset:2832
.LBB0_28:
	s_nop 0
	s_sendmsg sendmsg(MSG_DEALLOC_VGPRS)
	s_endpgm
	.section	.rodata,"a",@progbits
	.p2align	6, 0x0
	.amdhsa_kernel fft_rtc_back_len1890_factors_2_3_3_3_7_5_wgs_126_tpt_126_halfLds_sp_ip_CI_unitstride_sbrr_R2C_dirReg
		.amdhsa_group_segment_fixed_size 0
		.amdhsa_private_segment_fixed_size 0
		.amdhsa_kernarg_size 88
		.amdhsa_user_sgpr_count 15
		.amdhsa_user_sgpr_dispatch_ptr 0
		.amdhsa_user_sgpr_queue_ptr 0
		.amdhsa_user_sgpr_kernarg_segment_ptr 1
		.amdhsa_user_sgpr_dispatch_id 0
		.amdhsa_user_sgpr_private_segment_size 0
		.amdhsa_wavefront_size32 1
		.amdhsa_uses_dynamic_stack 0
		.amdhsa_enable_private_segment 0
		.amdhsa_system_sgpr_workgroup_id_x 1
		.amdhsa_system_sgpr_workgroup_id_y 0
		.amdhsa_system_sgpr_workgroup_id_z 0
		.amdhsa_system_sgpr_workgroup_info 0
		.amdhsa_system_vgpr_workitem_id 0
		.amdhsa_next_free_vgpr 109
		.amdhsa_next_free_sgpr 21
		.amdhsa_reserve_vcc 1
		.amdhsa_float_round_mode_32 0
		.amdhsa_float_round_mode_16_64 0
		.amdhsa_float_denorm_mode_32 3
		.amdhsa_float_denorm_mode_16_64 3
		.amdhsa_dx10_clamp 1
		.amdhsa_ieee_mode 1
		.amdhsa_fp16_overflow 0
		.amdhsa_workgroup_processor_mode 1
		.amdhsa_memory_ordered 1
		.amdhsa_forward_progress 0
		.amdhsa_shared_vgpr_count 0
		.amdhsa_exception_fp_ieee_invalid_op 0
		.amdhsa_exception_fp_denorm_src 0
		.amdhsa_exception_fp_ieee_div_zero 0
		.amdhsa_exception_fp_ieee_overflow 0
		.amdhsa_exception_fp_ieee_underflow 0
		.amdhsa_exception_fp_ieee_inexact 0
		.amdhsa_exception_int_div_zero 0
	.end_amdhsa_kernel
	.text
.Lfunc_end0:
	.size	fft_rtc_back_len1890_factors_2_3_3_3_7_5_wgs_126_tpt_126_halfLds_sp_ip_CI_unitstride_sbrr_R2C_dirReg, .Lfunc_end0-fft_rtc_back_len1890_factors_2_3_3_3_7_5_wgs_126_tpt_126_halfLds_sp_ip_CI_unitstride_sbrr_R2C_dirReg
                                        ; -- End function
	.section	.AMDGPU.csdata,"",@progbits
; Kernel info:
; codeLenInByte = 12192
; NumSgprs: 23
; NumVgprs: 109
; ScratchSize: 0
; MemoryBound: 0
; FloatMode: 240
; IeeeMode: 1
; LDSByteSize: 0 bytes/workgroup (compile time only)
; SGPRBlocks: 2
; VGPRBlocks: 13
; NumSGPRsForWavesPerEU: 23
; NumVGPRsForWavesPerEU: 109
; Occupancy: 12
; WaveLimiterHint : 1
; COMPUTE_PGM_RSRC2:SCRATCH_EN: 0
; COMPUTE_PGM_RSRC2:USER_SGPR: 15
; COMPUTE_PGM_RSRC2:TRAP_HANDLER: 0
; COMPUTE_PGM_RSRC2:TGID_X_EN: 1
; COMPUTE_PGM_RSRC2:TGID_Y_EN: 0
; COMPUTE_PGM_RSRC2:TGID_Z_EN: 0
; COMPUTE_PGM_RSRC2:TIDIG_COMP_CNT: 0
	.text
	.p2alignl 7, 3214868480
	.fill 96, 4, 3214868480
	.type	__hip_cuid_2e7db51459c0c14e,@object ; @__hip_cuid_2e7db51459c0c14e
	.section	.bss,"aw",@nobits
	.globl	__hip_cuid_2e7db51459c0c14e
__hip_cuid_2e7db51459c0c14e:
	.byte	0                               ; 0x0
	.size	__hip_cuid_2e7db51459c0c14e, 1

	.ident	"AMD clang version 19.0.0git (https://github.com/RadeonOpenCompute/llvm-project roc-6.4.0 25133 c7fe45cf4b819c5991fe208aaa96edf142730f1d)"
	.section	".note.GNU-stack","",@progbits
	.addrsig
	.addrsig_sym __hip_cuid_2e7db51459c0c14e
	.amdgpu_metadata
---
amdhsa.kernels:
  - .args:
      - .actual_access:  read_only
        .address_space:  global
        .offset:         0
        .size:           8
        .value_kind:     global_buffer
      - .offset:         8
        .size:           8
        .value_kind:     by_value
      - .actual_access:  read_only
        .address_space:  global
        .offset:         16
        .size:           8
        .value_kind:     global_buffer
      - .actual_access:  read_only
        .address_space:  global
        .offset:         24
        .size:           8
        .value_kind:     global_buffer
      - .offset:         32
        .size:           8
        .value_kind:     by_value
      - .actual_access:  read_only
        .address_space:  global
        .offset:         40
        .size:           8
        .value_kind:     global_buffer
      - .actual_access:  read_only
        .address_space:  global
        .offset:         48
        .size:           8
        .value_kind:     global_buffer
      - .offset:         56
        .size:           4
        .value_kind:     by_value
      - .actual_access:  read_only
        .address_space:  global
        .offset:         64
        .size:           8
        .value_kind:     global_buffer
      - .actual_access:  read_only
        .address_space:  global
        .offset:         72
        .size:           8
        .value_kind:     global_buffer
      - .address_space:  global
        .offset:         80
        .size:           8
        .value_kind:     global_buffer
    .group_segment_fixed_size: 0
    .kernarg_segment_align: 8
    .kernarg_segment_size: 88
    .language:       OpenCL C
    .language_version:
      - 2
      - 0
    .max_flat_workgroup_size: 126
    .name:           fft_rtc_back_len1890_factors_2_3_3_3_7_5_wgs_126_tpt_126_halfLds_sp_ip_CI_unitstride_sbrr_R2C_dirReg
    .private_segment_fixed_size: 0
    .sgpr_count:     23
    .sgpr_spill_count: 0
    .symbol:         fft_rtc_back_len1890_factors_2_3_3_3_7_5_wgs_126_tpt_126_halfLds_sp_ip_CI_unitstride_sbrr_R2C_dirReg.kd
    .uniform_work_group_size: 1
    .uses_dynamic_stack: false
    .vgpr_count:     109
    .vgpr_spill_count: 0
    .wavefront_size: 32
    .workgroup_processor_mode: 1
amdhsa.target:   amdgcn-amd-amdhsa--gfx1100
amdhsa.version:
  - 1
  - 2
...

	.end_amdgpu_metadata
